;; amdgpu-corpus repo=ROCm/rocFFT kind=compiled arch=gfx950 opt=O3
	.text
	.amdgcn_target "amdgcn-amd-amdhsa--gfx950"
	.amdhsa_code_object_version 6
	.protected	fft_rtc_fwd_len1176_factors_2_2_2_3_7_7_wgs_56_tpt_56_halfLds_sp_op_CI_CI_unitstride_sbrr_C2R_dirReg ; -- Begin function fft_rtc_fwd_len1176_factors_2_2_2_3_7_7_wgs_56_tpt_56_halfLds_sp_op_CI_CI_unitstride_sbrr_C2R_dirReg
	.globl	fft_rtc_fwd_len1176_factors_2_2_2_3_7_7_wgs_56_tpt_56_halfLds_sp_op_CI_CI_unitstride_sbrr_C2R_dirReg
	.p2align	8
	.type	fft_rtc_fwd_len1176_factors_2_2_2_3_7_7_wgs_56_tpt_56_halfLds_sp_op_CI_CI_unitstride_sbrr_C2R_dirReg,@function
fft_rtc_fwd_len1176_factors_2_2_2_3_7_7_wgs_56_tpt_56_halfLds_sp_op_CI_CI_unitstride_sbrr_C2R_dirReg: ; @fft_rtc_fwd_len1176_factors_2_2_2_3_7_7_wgs_56_tpt_56_halfLds_sp_op_CI_CI_unitstride_sbrr_C2R_dirReg
; %bb.0:
	s_load_dwordx4 s[4:7], s[0:1], 0x58
	s_load_dwordx4 s[8:11], s[0:1], 0x0
	;; [unrolled: 1-line block ×3, first 2 shown]
	v_mul_u32_u24_e32 v1, 0x493, v0
	v_add_u32_sdwa v6, s2, v1 dst_sel:DWORD dst_unused:UNUSED_PAD src0_sel:DWORD src1_sel:WORD_1
	v_mov_b32_e32 v4, 0
	s_waitcnt lgkmcnt(0)
	v_cmp_lt_u64_e64 s[2:3], s[10:11], 2
	v_mov_b32_e32 v7, v4
	s_and_b64 vcc, exec, s[2:3]
	v_mov_b64_e32 v[2:3], 0
	s_cbranch_vccnz .LBB0_8
; %bb.1:
	s_load_dwordx2 s[2:3], s[0:1], 0x10
	s_add_u32 s16, s14, 8
	s_addc_u32 s17, s15, 0
	s_add_u32 s18, s12, 8
	s_addc_u32 s19, s13, 0
	s_waitcnt lgkmcnt(0)
	s_add_u32 s20, s2, 8
	v_mov_b64_e32 v[2:3], 0
	s_addc_u32 s21, s3, 0
	s_mov_b64 s[22:23], 1
	v_mov_b64_e32 v[60:61], v[2:3]
.LBB0_2:                                ; =>This Inner Loop Header: Depth=1
	s_load_dwordx2 s[24:25], s[20:21], 0x0
                                        ; implicit-def: $vgpr64_vgpr65
	s_waitcnt lgkmcnt(0)
	v_or_b32_e32 v5, s25, v7
	v_cmp_ne_u64_e32 vcc, 0, v[4:5]
	s_and_saveexec_b64 s[2:3], vcc
	s_xor_b64 s[26:27], exec, s[2:3]
	s_cbranch_execz .LBB0_4
; %bb.3:                                ;   in Loop: Header=BB0_2 Depth=1
	v_cvt_f32_u32_e32 v1, s24
	v_cvt_f32_u32_e32 v5, s25
	s_sub_u32 s2, 0, s24
	s_subb_u32 s3, 0, s25
	v_fmac_f32_e32 v1, 0x4f800000, v5
	v_rcp_f32_e32 v1, v1
	s_nop 0
	v_mul_f32_e32 v1, 0x5f7ffffc, v1
	v_mul_f32_e32 v5, 0x2f800000, v1
	v_trunc_f32_e32 v5, v5
	v_fmac_f32_e32 v1, 0xcf800000, v5
	v_cvt_u32_f32_e32 v5, v5
	v_cvt_u32_f32_e32 v1, v1
	v_mul_lo_u32 v8, s2, v5
	v_mul_hi_u32 v10, s2, v1
	v_mul_lo_u32 v9, s3, v1
	v_add_u32_e32 v10, v10, v8
	v_mul_lo_u32 v12, s2, v1
	v_add_u32_e32 v13, v10, v9
	v_mul_hi_u32 v8, v1, v12
	v_mul_hi_u32 v11, v1, v13
	v_mul_lo_u32 v10, v1, v13
	v_mov_b32_e32 v9, v4
	v_lshl_add_u64 v[8:9], v[8:9], 0, v[10:11]
	v_mul_hi_u32 v11, v5, v12
	v_mul_lo_u32 v12, v5, v12
	v_add_co_u32_e32 v8, vcc, v8, v12
	v_mul_hi_u32 v10, v5, v13
	s_nop 0
	v_addc_co_u32_e32 v8, vcc, v9, v11, vcc
	v_mov_b32_e32 v9, v4
	s_nop 0
	v_addc_co_u32_e32 v11, vcc, 0, v10, vcc
	v_mul_lo_u32 v10, v5, v13
	v_lshl_add_u64 v[8:9], v[8:9], 0, v[10:11]
	v_add_co_u32_e32 v1, vcc, v1, v8
	v_mul_lo_u32 v10, s2, v1
	s_nop 0
	v_addc_co_u32_e32 v5, vcc, v5, v9, vcc
	v_mul_lo_u32 v8, s2, v5
	v_mul_hi_u32 v9, s2, v1
	v_add_u32_e32 v8, v9, v8
	v_mul_lo_u32 v9, s3, v1
	v_add_u32_e32 v12, v8, v9
	v_mul_hi_u32 v14, v5, v10
	v_mul_lo_u32 v15, v5, v10
	v_mul_hi_u32 v9, v1, v12
	v_mul_lo_u32 v8, v1, v12
	v_mul_hi_u32 v10, v1, v10
	v_mov_b32_e32 v11, v4
	v_lshl_add_u64 v[8:9], v[10:11], 0, v[8:9]
	v_add_co_u32_e32 v8, vcc, v8, v15
	v_mul_hi_u32 v13, v5, v12
	s_nop 0
	v_addc_co_u32_e32 v8, vcc, v9, v14, vcc
	v_mul_lo_u32 v10, v5, v12
	s_nop 0
	v_addc_co_u32_e32 v11, vcc, 0, v13, vcc
	v_mov_b32_e32 v9, v4
	v_lshl_add_u64 v[8:9], v[8:9], 0, v[10:11]
	v_add_co_u32_e32 v1, vcc, v1, v8
	v_mul_hi_u32 v10, v6, v1
	s_nop 0
	v_addc_co_u32_e32 v5, vcc, v5, v9, vcc
	v_mad_u64_u32 v[8:9], s[2:3], v6, v5, 0
	v_mov_b32_e32 v11, v4
	v_lshl_add_u64 v[8:9], v[10:11], 0, v[8:9]
	v_mad_u64_u32 v[12:13], s[2:3], v7, v1, 0
	v_add_co_u32_e32 v1, vcc, v8, v12
	v_mad_u64_u32 v[10:11], s[2:3], v7, v5, 0
	s_nop 0
	v_addc_co_u32_e32 v8, vcc, v9, v13, vcc
	v_mov_b32_e32 v9, v4
	s_nop 0
	v_addc_co_u32_e32 v11, vcc, 0, v11, vcc
	v_lshl_add_u64 v[8:9], v[8:9], 0, v[10:11]
	v_mul_lo_u32 v1, s25, v8
	v_mul_lo_u32 v5, s24, v9
	v_mad_u64_u32 v[10:11], s[2:3], s24, v8, 0
	v_add3_u32 v1, v11, v5, v1
	v_sub_u32_e32 v5, v7, v1
	v_mov_b32_e32 v11, s25
	v_sub_co_u32_e32 v14, vcc, v6, v10
	v_lshl_add_u64 v[12:13], v[8:9], 0, 1
	s_nop 0
	v_subb_co_u32_e64 v5, s[2:3], v5, v11, vcc
	v_subrev_co_u32_e64 v10, s[2:3], s24, v14
	v_subb_co_u32_e32 v1, vcc, v7, v1, vcc
	s_nop 0
	v_subbrev_co_u32_e64 v5, s[2:3], 0, v5, s[2:3]
	v_cmp_le_u32_e64 s[2:3], s25, v5
	v_cmp_le_u32_e32 vcc, s25, v1
	s_nop 0
	v_cndmask_b32_e64 v11, 0, -1, s[2:3]
	v_cmp_le_u32_e64 s[2:3], s24, v10
	s_nop 1
	v_cndmask_b32_e64 v10, 0, -1, s[2:3]
	v_cmp_eq_u32_e64 s[2:3], s25, v5
	s_nop 1
	v_cndmask_b32_e64 v5, v11, v10, s[2:3]
	v_lshl_add_u64 v[10:11], v[8:9], 0, 2
	v_cmp_ne_u32_e64 s[2:3], 0, v5
	s_nop 1
	v_cndmask_b32_e64 v5, v13, v11, s[2:3]
	v_cndmask_b32_e64 v11, 0, -1, vcc
	v_cmp_le_u32_e32 vcc, s24, v14
	s_nop 1
	v_cndmask_b32_e64 v13, 0, -1, vcc
	v_cmp_eq_u32_e32 vcc, s25, v1
	s_nop 1
	v_cndmask_b32_e32 v1, v11, v13, vcc
	v_cmp_ne_u32_e32 vcc, 0, v1
	v_cndmask_b32_e64 v1, v12, v10, s[2:3]
	s_nop 0
	v_cndmask_b32_e32 v65, v9, v5, vcc
	v_cndmask_b32_e32 v64, v8, v1, vcc
.LBB0_4:                                ;   in Loop: Header=BB0_2 Depth=1
	s_andn2_saveexec_b64 s[2:3], s[26:27]
	s_cbranch_execz .LBB0_6
; %bb.5:                                ;   in Loop: Header=BB0_2 Depth=1
	v_cvt_f32_u32_e32 v1, s24
	s_sub_i32 s26, 0, s24
	v_mov_b32_e32 v65, v4
	v_rcp_iflag_f32_e32 v1, v1
	s_nop 0
	v_mul_f32_e32 v1, 0x4f7ffffe, v1
	v_cvt_u32_f32_e32 v1, v1
	v_mul_lo_u32 v5, s26, v1
	v_mul_hi_u32 v5, v1, v5
	v_add_u32_e32 v1, v1, v5
	v_mul_hi_u32 v1, v6, v1
	v_mul_lo_u32 v5, v1, s24
	v_sub_u32_e32 v5, v6, v5
	v_add_u32_e32 v8, 1, v1
	v_subrev_u32_e32 v9, s24, v5
	v_cmp_le_u32_e32 vcc, s24, v5
	s_nop 1
	v_cndmask_b32_e32 v5, v5, v9, vcc
	v_cndmask_b32_e32 v1, v1, v8, vcc
	v_add_u32_e32 v8, 1, v1
	v_cmp_le_u32_e32 vcc, s24, v5
	s_nop 1
	v_cndmask_b32_e32 v64, v1, v8, vcc
.LBB0_6:                                ;   in Loop: Header=BB0_2 Depth=1
	s_or_b64 exec, exec, s[2:3]
	v_mad_u64_u32 v[8:9], s[2:3], v64, s24, 0
	s_load_dwordx2 s[2:3], s[18:19], 0x0
	v_mul_lo_u32 v1, v65, s24
	v_mul_lo_u32 v5, v64, s25
	s_load_dwordx2 s[24:25], s[16:17], 0x0
	s_add_u32 s22, s22, 1
	v_add3_u32 v1, v9, v5, v1
	v_sub_co_u32_e32 v5, vcc, v6, v8
	s_addc_u32 s23, s23, 0
	s_nop 0
	v_subb_co_u32_e32 v1, vcc, v7, v1, vcc
	s_add_u32 s16, s16, 8
	s_waitcnt lgkmcnt(0)
	v_mul_lo_u32 v6, s2, v1
	v_mul_lo_u32 v7, s3, v5
	v_mad_u64_u32 v[2:3], s[2:3], s2, v5, v[2:3]
	s_addc_u32 s17, s17, 0
	v_add3_u32 v3, v7, v3, v6
	v_mul_lo_u32 v1, s24, v1
	v_mul_lo_u32 v6, s25, v5
	v_mad_u64_u32 v[60:61], s[2:3], s24, v5, v[60:61]
	s_add_u32 s18, s18, 8
	v_add3_u32 v61, v6, v61, v1
	s_addc_u32 s19, s19, 0
	v_mov_b64_e32 v[6:7], s[10:11]
	s_add_u32 s20, s20, 8
	v_cmp_ge_u64_e32 vcc, s[22:23], v[6:7]
	s_addc_u32 s21, s21, 0
	s_cbranch_vccnz .LBB0_9
; %bb.7:                                ;   in Loop: Header=BB0_2 Depth=1
	v_mov_b64_e32 v[6:7], v[64:65]
	s_branch .LBB0_2
.LBB0_8:
	v_mov_b64_e32 v[60:61], v[2:3]
	v_mov_b64_e32 v[64:65], v[6:7]
.LBB0_9:
	s_load_dwordx2 s[2:3], s[0:1], 0x28
	s_lshl_b64 s[16:17], s[10:11], 3
	s_add_u32 s10, s14, s16
	s_addc_u32 s11, s15, s17
                                        ; implicit-def: $vgpr62
	s_waitcnt lgkmcnt(0)
	v_cmp_gt_u64_e64 s[0:1], s[2:3], v[64:65]
	v_cmp_le_u64_e32 vcc, s[2:3], v[64:65]
	s_and_saveexec_b64 s[2:3], vcc
	s_xor_b64 s[2:3], exec, s[2:3]
; %bb.10:
	s_mov_b32 s14, 0x4924925
	v_mul_hi_u32 v1, v0, s14
	v_mul_u32_u24_e32 v1, 56, v1
	v_sub_u32_e32 v62, v0, v1
                                        ; implicit-def: $vgpr0
                                        ; implicit-def: $vgpr2_vgpr3
; %bb.11:
	s_or_saveexec_b64 s[2:3], s[2:3]
	s_load_dwordx2 s[10:11], s[10:11], 0x0
	s_xor_b64 exec, exec, s[2:3]
	s_cbranch_execz .LBB0_15
; %bb.12:
	s_add_u32 s12, s12, s16
	s_addc_u32 s13, s13, s17
	s_load_dwordx2 s[12:13], s[12:13], 0x0
	s_mov_b32 s14, 0x4924925
	s_waitcnt lgkmcnt(0)
	v_mul_lo_u32 v1, s13, v64
	v_mul_lo_u32 v6, s12, v65
	v_mad_u64_u32 v[4:5], s[12:13], s12, v64, 0
	v_add3_u32 v5, v5, v6, v1
	v_mul_hi_u32 v1, v0, s14
	v_mul_u32_u24_e32 v1, 56, v1
	v_sub_u32_e32 v62, v0, v1
	v_lshl_add_u64 v[0:1], v[4:5], 3, s[4:5]
	v_lshl_add_u64 v[2:3], v[2:3], 3, v[0:1]
	v_lshlrev_b32_e32 v0, 3, v62
	v_mov_b32_e32 v1, 0
	v_lshl_add_u64 v[4:5], v[2:3], 0, v[0:1]
	s_movk_i32 s4, 0x1000
	v_add_co_u32_e32 v22, vcc, s4, v4
	global_load_dwordx2 v[6:7], v[4:5], off
	global_load_dwordx2 v[8:9], v[4:5], off offset:448
	global_load_dwordx2 v[10:11], v[4:5], off offset:896
	;; [unrolled: 1-line block ×7, first 2 shown]
	v_addc_co_u32_e32 v23, vcc, 0, v5, vcc
	global_load_dwordx2 v[24:25], v[4:5], off offset:3584
	global_load_dwordx2 v[26:27], v[4:5], off offset:4032
	;; [unrolled: 1-line block ×8, first 2 shown]
	v_add_co_u32_e32 v4, vcc, 0x2000, v4
	v_add_u32_e32 v52, 0, v0
	v_or_b32_e32 v0, 0x1c00, v0
	v_addc_co_u32_e32 v5, vcc, 0, v5, vcc
	v_lshl_add_u64 v[40:41], v[2:3], 0, v[0:1]
	global_load_dwordx2 v[42:43], v[22:23], off offset:3520
	global_load_dwordx2 v[44:45], v[4:5], off offset:320
	global_load_dwordx2 v[46:47], v[40:41], off
	global_load_dwordx2 v[48:49], v[22:23], off offset:3968
	global_load_dwordx2 v[50:51], v[4:5], off offset:768
	v_cmp_eq_u32_e32 vcc, 55, v62
	v_add_u32_e32 v0, 0x400, v52
	v_add_u32_e32 v4, 0x800, v52
	;; [unrolled: 1-line block ×5, first 2 shown]
	s_waitcnt vmcnt(19)
	ds_write2_b64 v52, v[6:7], v[8:9] offset1:56
	s_waitcnt vmcnt(17)
	ds_write2_b64 v52, v[10:11], v[12:13] offset0:112 offset1:168
	s_waitcnt vmcnt(15)
	ds_write2_b64 v0, v[14:15], v[16:17] offset0:96 offset1:152
	;; [unrolled: 2-line block ×9, first 2 shown]
	s_waitcnt vmcnt(0)
	ds_write_b64 v52, v[50:51] offset:8960
	s_and_saveexec_b64 s[4:5], vcc
	s_cbranch_execz .LBB0_14
; %bb.13:
	v_add_co_u32_e32 v2, vcc, 0x2000, v2
	v_mov_b32_e32 v62, 55
	s_nop 0
	v_addc_co_u32_e32 v3, vcc, 0, v3, vcc
	global_load_dwordx2 v[2:3], v[2:3], off offset:1216
	s_waitcnt vmcnt(0)
	ds_write_b64 v1, v[2:3] offset:9408
.LBB0_14:
	s_or_b64 exec, exec, s[4:5]
.LBB0_15:
	s_or_b64 exec, exec, s[2:3]
	v_lshlrev_b32_e32 v0, 3, v62
	v_add_u32_e32 v76, 0, v0
	s_waitcnt lgkmcnt(0)
	; wave barrier
	s_waitcnt lgkmcnt(0)
	v_sub_u32_e32 v4, 0, v0
	ds_read_b32 v0, v76
	ds_read_b32 v1, v4 offset:9408
	s_add_u32 s2, s8, 0x24b0
	s_addc_u32 s3, s9, 0
	v_cmp_ne_u32_e32 vcc, 0, v62
	s_waitcnt lgkmcnt(0)
	v_add_f32_e32 v2, v1, v0
	v_sub_f32_e32 v3, v0, v1
                                        ; implicit-def: $vgpr0_vgpr1
	s_and_saveexec_b64 s[4:5], vcc
	s_xor_b64 s[4:5], exec, s[4:5]
	s_cbranch_execz .LBB0_17
; %bb.16:
	v_mov_b32_e32 v63, 0
	v_lshl_add_u64 v[0:1], v[62:63], 3, s[2:3]
	global_load_dwordx2 v[6:7], v[0:1], off
	ds_read_b32 v5, v4 offset:9412
	ds_read_b32 v11, v76 offset:4
	v_mov_b32_e32 v8, v3
	v_mov_b32_e32 v10, v2
	;; [unrolled: 1-line block ×3, first 2 shown]
	v_mov_b64_e32 v[0:1], v[62:63]
	s_waitcnt lgkmcnt(0)
	v_add_f32_e32 v9, v5, v11
	v_sub_f32_e32 v11, v11, v5
	v_mov_b32_e32 v12, v9
	s_waitcnt vmcnt(0)
	v_pk_mul_f32 v[14:15], v[8:9], v[6:7] op_sel:[0,1]
	v_pk_fma_f32 v[8:9], v[8:9], v[6:7], v[10:11] op_sel:[0,1,0]
	v_mov_b32_e32 v3, v15
	v_mov_b32_e32 v15, v11
	v_pk_fma_f32 v[16:17], v[6:7], v[12:13], v[8:9] neg_lo:[1,0,0] neg_hi:[1,0,0]
	v_pk_fma_f32 v[8:9], v[6:7], v[12:13], v[8:9] op_sel_hi:[0,1,1]
	v_pk_add_f32 v[2:3], v[2:3], v[14:15] neg_lo:[0,1] neg_hi:[0,1]
	v_mov_b32_e32 v17, v9
	v_pk_fma_f32 v[2:3], v[6:7], v[12:13], v[2:3] op_sel_hi:[0,1,1]
	ds_write_b64 v4, v[2:3] offset:9408
	v_mov_b64_e32 v[2:3], v[16:17]
.LBB0_17:
	s_andn2_saveexec_b64 s[4:5], s[4:5]
	s_cbranch_execz .LBB0_19
; %bb.18:
	v_mov_b32_e32 v5, 0
	ds_read_b64 v[0:1], v5 offset:4704
	s_mov_b32 s12, 2.0
	s_mov_b32 s13, -2.0
	s_waitcnt lgkmcnt(0)
	v_pk_mul_f32 v[0:1], v[0:1], s[12:13]
	ds_write_b64 v5, v[0:1] offset:4704
	v_mov_b64_e32 v[0:1], 0
.LBB0_19:
	s_or_b64 exec, exec, s[4:5]
	v_lshl_add_u64 v[0:1], v[0:1], 3, s[2:3]
	global_load_dwordx2 v[6:7], v[0:1], off offset:448
	global_load_dwordx2 v[8:9], v[0:1], off offset:896
	;; [unrolled: 1-line block ×4, first 2 shown]
	ds_write_b64 v76, v[2:3]
	ds_read_b64 v[2:3], v4 offset:8960
	ds_read_b64 v[14:15], v76 offset:448
	global_load_dwordx2 v[16:17], v[0:1], off offset:2240
	v_cmp_gt_u32_e64 s[2:3], 28, v62
	s_waitcnt lgkmcnt(0)
	v_pk_add_f32 v[18:19], v[14:15], v[2:3]
	v_pk_add_f32 v[2:3], v[14:15], v[2:3] neg_lo:[0,1] neg_hi:[0,1]
	v_mov_b32_e32 v14, v19
	v_mov_b32_e32 v15, v2
	v_mov_b32_e32 v19, v3
	s_waitcnt vmcnt(4)
	v_pk_mul_f32 v[20:21], v[14:15], v[6:7] op_sel:[0,1]
	s_nop 0
	v_pk_add_f32 v[22:23], v[18:19], v[20:21] op_sel:[0,1] op_sel_hi:[1,0]
	v_mov_b32_e32 v19, v20
	v_mov_b32_e32 v2, v21
	v_pk_fma_f32 v[20:21], v[6:7], v[14:15], v[22:23] neg_lo:[1,0,0] neg_hi:[1,0,0]
	v_pk_fma_f32 v[22:23], v[6:7], v[14:15], v[22:23] op_sel_hi:[0,1,1]
	v_pk_add_f32 v[2:3], v[18:19], v[2:3] neg_lo:[0,1] neg_hi:[0,1]
	v_mov_b32_e32 v21, v23
	v_pk_fma_f32 v[2:3], v[6:7], v[14:15], v[2:3] op_sel_hi:[0,1,1]
	ds_write_b64 v76, v[20:21] offset:448
	ds_write_b64 v4, v[2:3] offset:8960
	ds_read_b64 v[2:3], v4 offset:8512
	ds_read_b64 v[6:7], v76 offset:896
	global_load_dwordx2 v[14:15], v[0:1], off offset:2688
	s_waitcnt lgkmcnt(0)
	v_pk_add_f32 v[18:19], v[6:7], v[2:3]
	v_pk_add_f32 v[2:3], v[6:7], v[2:3] neg_lo:[0,1] neg_hi:[0,1]
	v_mov_b32_e32 v6, v19
	v_mov_b32_e32 v7, v2
	v_mov_b32_e32 v19, v3
	s_waitcnt vmcnt(4)
	v_pk_mul_f32 v[20:21], v[6:7], v[8:9] op_sel:[0,1]
	s_nop 0
	v_pk_add_f32 v[22:23], v[18:19], v[20:21] op_sel:[0,1] op_sel_hi:[1,0]
	v_mov_b32_e32 v19, v20
	v_mov_b32_e32 v2, v21
	v_pk_fma_f32 v[20:21], v[8:9], v[6:7], v[22:23] neg_lo:[1,0,0] neg_hi:[1,0,0]
	v_pk_fma_f32 v[22:23], v[8:9], v[6:7], v[22:23] op_sel_hi:[0,1,1]
	v_pk_add_f32 v[2:3], v[18:19], v[2:3] neg_lo:[0,1] neg_hi:[0,1]
	v_mov_b32_e32 v21, v23
	v_pk_fma_f32 v[2:3], v[8:9], v[6:7], v[2:3] op_sel_hi:[0,1,1]
	ds_write_b64 v76, v[20:21] offset:896
	ds_write_b64 v4, v[2:3] offset:8512
	ds_read_b64 v[2:3], v4 offset:8064
	ds_read_b64 v[6:7], v76 offset:1344
	global_load_dwordx2 v[8:9], v[0:1], off offset:3136
	;; [unrolled: 22-line block ×4, first 2 shown]
	s_waitcnt lgkmcnt(0)
	v_pk_add_f32 v[18:19], v[6:7], v[2:3]
	v_pk_add_f32 v[2:3], v[6:7], v[2:3] neg_lo:[0,1] neg_hi:[0,1]
	v_mov_b32_e32 v6, v19
	v_mov_b32_e32 v7, v2
	v_mov_b32_e32 v19, v3
	s_waitcnt vmcnt(4)
	v_pk_mul_f32 v[20:21], v[6:7], v[16:17] op_sel:[0,1]
	s_nop 0
	v_pk_add_f32 v[22:23], v[18:19], v[20:21] op_sel:[0,1] op_sel_hi:[1,0]
	v_mov_b32_e32 v19, v20
	v_mov_b32_e32 v2, v21
	v_pk_fma_f32 v[20:21], v[16:17], v[6:7], v[22:23] neg_lo:[1,0,0] neg_hi:[1,0,0]
	v_pk_fma_f32 v[22:23], v[16:17], v[6:7], v[22:23] op_sel_hi:[0,1,1]
	v_pk_add_f32 v[2:3], v[18:19], v[2:3] neg_lo:[0,1] neg_hi:[0,1]
	v_mov_b32_e32 v21, v23
	v_pk_fma_f32 v[2:3], v[16:17], v[6:7], v[2:3] op_sel_hi:[0,1,1]
	ds_write_b64 v76, v[20:21] offset:2240
	ds_write_b64 v4, v[2:3] offset:7168
	ds_read_b64 v[2:3], v4 offset:6720
	ds_read_b64 v[6:7], v76 offset:2688
	s_waitcnt lgkmcnt(0)
	v_pk_add_f32 v[16:17], v[6:7], v[2:3]
	v_pk_add_f32 v[2:3], v[6:7], v[2:3] neg_lo:[0,1] neg_hi:[0,1]
	v_mov_b32_e32 v6, v17
	v_mov_b32_e32 v7, v2
	v_mov_b32_e32 v17, v3
	s_waitcnt vmcnt(3)
	v_pk_mul_f32 v[18:19], v[6:7], v[14:15] op_sel:[0,1]
	s_nop 0
	v_pk_add_f32 v[20:21], v[16:17], v[18:19] op_sel:[0,1] op_sel_hi:[1,0]
	v_mov_b32_e32 v17, v18
	v_mov_b32_e32 v2, v19
	v_pk_fma_f32 v[18:19], v[14:15], v[6:7], v[20:21] neg_lo:[1,0,0] neg_hi:[1,0,0]
	v_pk_fma_f32 v[20:21], v[14:15], v[6:7], v[20:21] op_sel_hi:[0,1,1]
	v_pk_add_f32 v[2:3], v[16:17], v[2:3] neg_lo:[0,1] neg_hi:[0,1]
	v_mov_b32_e32 v19, v21
	v_pk_fma_f32 v[2:3], v[14:15], v[6:7], v[2:3] op_sel_hi:[0,1,1]
	ds_write_b64 v76, v[18:19] offset:2688
	ds_write_b64 v4, v[2:3] offset:6720
	ds_read_b64 v[2:3], v4 offset:6272
	ds_read_b64 v[6:7], v76 offset:3136
	;; [unrolled: 21-line block ×4, first 2 shown]
	s_waitcnt lgkmcnt(0)
	v_pk_add_f32 v[8:9], v[6:7], v[2:3]
	v_pk_add_f32 v[2:3], v[6:7], v[2:3] neg_lo:[0,1] neg_hi:[0,1]
	v_mov_b32_e32 v6, v9
	v_mov_b32_e32 v7, v2
	;; [unrolled: 1-line block ×3, first 2 shown]
	s_waitcnt vmcnt(0)
	v_pk_mul_f32 v[10:11], v[6:7], v[12:13] op_sel:[0,1]
	s_nop 0
	v_pk_add_f32 v[14:15], v[8:9], v[10:11] op_sel:[0,1] op_sel_hi:[1,0]
	v_mov_b32_e32 v9, v10
	v_mov_b32_e32 v2, v11
	v_pk_fma_f32 v[10:11], v[12:13], v[6:7], v[14:15] neg_lo:[1,0,0] neg_hi:[1,0,0]
	v_pk_fma_f32 v[14:15], v[12:13], v[6:7], v[14:15] op_sel_hi:[0,1,1]
	v_pk_add_f32 v[2:3], v[8:9], v[2:3] neg_lo:[0,1] neg_hi:[0,1]
	v_mov_b32_e32 v11, v15
	v_pk_fma_f32 v[2:3], v[12:13], v[6:7], v[2:3] op_sel_hi:[0,1,1]
	ds_write_b64 v76, v[10:11] offset:4032
	ds_write_b64 v4, v[2:3] offset:5376
	s_and_saveexec_b64 s[4:5], s[2:3]
	s_cbranch_execz .LBB0_21
; %bb.20:
	v_add_co_u32_e32 v0, vcc, 0x1000, v0
	s_nop 1
	v_addc_co_u32_e32 v1, vcc, 0, v1, vcc
	global_load_dwordx2 v[0:1], v[0:1], off offset:384
	ds_read_b64 v[2:3], v4 offset:4928
	ds_read_b64 v[6:7], v76 offset:4480
	s_waitcnt lgkmcnt(0)
	v_pk_add_f32 v[8:9], v[6:7], v[2:3]
	v_pk_add_f32 v[2:3], v[6:7], v[2:3] neg_lo:[0,1] neg_hi:[0,1]
	v_mov_b32_e32 v6, v9
	v_mov_b32_e32 v7, v2
	;; [unrolled: 1-line block ×3, first 2 shown]
	s_waitcnt vmcnt(0)
	v_pk_mul_f32 v[10:11], v[6:7], v[0:1] op_sel:[0,1]
	s_nop 0
	v_pk_add_f32 v[12:13], v[8:9], v[10:11] op_sel:[0,1] op_sel_hi:[1,0]
	v_mov_b32_e32 v9, v10
	v_mov_b32_e32 v2, v11
	v_pk_fma_f32 v[10:11], v[0:1], v[6:7], v[12:13] neg_lo:[1,0,0] neg_hi:[1,0,0]
	v_pk_fma_f32 v[12:13], v[0:1], v[6:7], v[12:13] op_sel_hi:[0,1,1]
	v_pk_add_f32 v[2:3], v[8:9], v[2:3] neg_lo:[0,1] neg_hi:[0,1]
	v_mov_b32_e32 v11, v13
	v_pk_fma_f32 v[0:1], v[0:1], v[6:7], v[2:3] op_sel_hi:[0,1,1]
	ds_write_b64 v76, v[10:11] offset:4480
	ds_write_b64 v4, v[0:1] offset:4928
.LBB0_21:
	s_or_b64 exec, exec, s[4:5]
	v_add_u32_e32 v0, 0x1000, v76
	s_waitcnt lgkmcnt(0)
	; wave barrier
	s_waitcnt lgkmcnt(0)
	s_waitcnt lgkmcnt(0)
	; wave barrier
	s_waitcnt lgkmcnt(0)
	ds_read2_b64 v[6:9], v0 offset0:48 offset1:76
	ds_read2_b64 v[10:13], v76 offset1:56
	v_add_u32_e32 v4, 0x2000, v76
	ds_read2_b64 v[14:17], v4 offset0:68 offset1:124
	v_add_u32_e32 v1, 0x1400, v76
	v_add_u32_e32 v2, 0x1800, v76
	s_waitcnt lgkmcnt(1)
	v_pk_add_f32 v[38:39], v[10:11], v[8:9] neg_lo:[0,1] neg_hi:[0,1]
	v_add_u32_e32 v3, 0x800, v76
	v_pk_fma_f32 v[40:41], v[10:11], 2.0, v[38:39] op_sel_hi:[1,0,1] neg_lo:[0,0,1] neg_hi:[0,0,1]
	ds_read2_b64 v[8:11], v0 offset0:132 offset1:188
	ds_read2_b64 v[18:21], v76 offset0:112 offset1:168
	ds_read2_b64 v[22:25], v1 offset0:116 offset1:172
	v_add_u32_e32 v1, 0x400, v76
	ds_read2_b64 v[26:29], v1 offset0:96 offset1:152
	ds_read2_b64 v[30:33], v2 offset0:100 offset1:156
	v_add_u32_e32 v42, 0x1c00, v76
	v_lshl_add_u32 v5, v62, 3, v76
	ds_read2_b64 v[34:37], v3 offset0:80 offset1:136
	ds_read2_b64 v[54:57], v42 offset0:84 offset1:140
	;; [unrolled: 1-line block ×3, first 2 shown]
	v_add_u32_e32 v46, 56, v62
	s_waitcnt lgkmcnt(0)
	; wave barrier
	s_waitcnt lgkmcnt(0)
	ds_write2_b64 v5, v[40:41], v[38:39] offset1:1
	v_pk_add_f32 v[8:9], v[12:13], v[8:9] neg_lo:[0,1] neg_hi:[0,1]
	v_pk_add_f32 v[40:41], v[6:7], v[16:17] neg_lo:[0,1] neg_hi:[0,1]
	v_add_u32_e32 v47, 0x70, v62
	v_pk_fma_f32 v[12:13], v[12:13], 2.0, v[8:9] op_sel_hi:[1,0,1] neg_lo:[0,0,1] neg_hi:[0,0,1]
	v_lshl_add_u32 v5, v46, 4, 0
	v_pk_fma_f32 v[42:43], v[6:7], 2.0, v[40:41] op_sel_hi:[1,0,1] neg_lo:[0,0,1] neg_hi:[0,0,1]
	v_pk_add_f32 v[6:7], v[18:19], v[10:11] neg_lo:[0,1] neg_hi:[0,1]
	ds_write2_b64 v5, v[12:13], v[8:9] offset1:1
	v_pk_fma_f32 v[8:9], v[18:19], 2.0, v[6:7] op_sel_hi:[1,0,1] neg_lo:[0,0,1] neg_hi:[0,0,1]
	v_lshl_add_u32 v5, v47, 4, 0
	v_add_u32_e32 v48, 0xa8, v62
	v_pk_add_f32 v[10:11], v[20:21], v[22:23] neg_lo:[0,1] neg_hi:[0,1]
	ds_write2_b64 v5, v[8:9], v[6:7] offset1:1
	v_pk_add_f32 v[8:9], v[28:29], v[30:31] neg_lo:[0,1] neg_hi:[0,1]
	v_add_u32_e32 v49, 0xe0, v62
	v_add_u32_e32 v50, 0x118, v62
	;; [unrolled: 1-line block ×4, first 2 shown]
	v_or_b32_e32 v52, 0x1c0, v62
	v_add_u32_e32 v66, 0x1f8, v62
	v_add_u32_e32 v44, 0x230, v62
	v_pk_fma_f32 v[12:13], v[20:21], 2.0, v[10:11] op_sel_hi:[1,0,1] neg_lo:[0,0,1] neg_hi:[0,0,1]
	v_lshl_add_u32 v38, v48, 4, 0
	v_pk_add_f32 v[16:17], v[26:27], v[24:25] neg_lo:[0,1] neg_hi:[0,1]
	v_pk_fma_f32 v[18:19], v[28:29], 2.0, v[8:9] op_sel_hi:[1,0,1] neg_lo:[0,0,1] neg_hi:[0,0,1]
	v_pk_add_f32 v[20:21], v[34:35], v[32:33] neg_lo:[0,1] neg_hi:[0,1]
	v_pk_add_f32 v[24:25], v[36:37], v[54:55] neg_lo:[0,1] neg_hi:[0,1]
	;; [unrolled: 1-line block ×4, first 2 shown]
	v_lshl_add_u32 v39, v49, 4, 0
	v_pk_fma_f32 v[6:7], v[26:27], 2.0, v[16:17] op_sel_hi:[1,0,1] neg_lo:[0,0,1] neg_hi:[0,0,1]
	v_lshl_add_u32 v5, v50, 4, 0
	v_lshl_add_u32 v53, v51, 4, 0
	v_pk_fma_f32 v[22:23], v[34:35], 2.0, v[20:21] op_sel_hi:[1,0,1] neg_lo:[0,0,1] neg_hi:[0,0,1]
	v_pk_fma_f32 v[26:27], v[36:37], 2.0, v[24:25] op_sel_hi:[1,0,1] neg_lo:[0,0,1] neg_hi:[0,0,1]
	v_lshl_add_u32 v34, v45, 4, 0
	v_lshl_add_u32 v35, v52, 4, 0
	v_pk_fma_f32 v[30:31], v[68:69], 2.0, v[28:29] op_sel_hi:[1,0,1] neg_lo:[0,0,1] neg_hi:[0,0,1]
	v_lshl_add_u32 v36, v66, 4, 0
	v_pk_fma_f32 v[32:33], v[70:71], 2.0, v[14:15] op_sel_hi:[1,0,1] neg_lo:[0,0,1] neg_hi:[0,0,1]
	ds_write2_b64 v38, v[12:13], v[10:11] offset1:1
	ds_write2_b64 v39, v[6:7], v[16:17] offset1:1
	;; [unrolled: 1-line block ×7, first 2 shown]
	s_and_saveexec_b64 s[4:5], s[2:3]
	s_cbranch_execz .LBB0_23
; %bb.22:
	v_lshl_add_u32 v5, v44, 4, 0
	ds_write2_b64 v5, v[42:43], v[40:41] offset1:1
.LBB0_23:
	s_or_b64 exec, exec, s[4:5]
	s_waitcnt lgkmcnt(0)
	; wave barrier
	s_waitcnt lgkmcnt(0)
	ds_read2_b64 v[12:15], v76 offset1:56
	ds_read2_b64 v[24:27], v0 offset0:76 offset1:132
	ds_read2_b64 v[16:19], v76 offset0:112 offset1:168
	;; [unrolled: 1-line block ×9, first 2 shown]
	v_lshlrev_b32_e32 v53, 1, v46
	v_lshlrev_b32_e32 v54, 1, v47
	;; [unrolled: 1-line block ×9, first 2 shown]
	s_and_saveexec_b64 s[4:5], s[2:3]
	s_cbranch_execz .LBB0_25
; %bb.24:
	ds_read_b64 v[42:43], v76 offset:4480
	ds_read_b64 v[40:41], v76 offset:9184
.LBB0_25:
	s_or_b64 exec, exec, s[4:5]
	v_and_b32_e32 v45, 1, v62
	v_lshlrev_b32_e32 v66, 3, v45
	global_load_dwordx2 v[68:69], v66, s[8:9]
	s_movk_i32 s12, 0x1fc
	s_movk_i32 s13, 0x3fc
	;; [unrolled: 1-line block ×3, first 2 shown]
	v_and_or_b32 v72, v54, s12, v45
	v_and_or_b32 v73, v55, s12, v45
	;; [unrolled: 1-line block ×5, first 2 shown]
	v_lshl_add_u32 v93, v72, 3, 0
	v_lshl_add_u32 v94, v73, 3, 0
	;; [unrolled: 1-line block ×5, first 2 shown]
	v_lshlrev_b32_e32 v66, 1, v62
	s_movk_i32 s4, 0x7c
	s_movk_i32 s5, 0xfc
	v_and_or_b32 v67, v66, s4, v45
	v_and_or_b32 v71, v53, s5, v45
	;; [unrolled: 1-line block ×3, first 2 shown]
	v_lshl_add_u32 v67, v67, 3, 0
	s_waitcnt lgkmcnt(0)
	; wave barrier
	s_waitcnt lgkmcnt(0)
	v_lshl_add_u32 v92, v71, 3, 0
	v_lshl_add_u32 v77, v77, 3, 0
	s_movk_i32 s4, 0x7fc
	v_mov_b32_e32 v70, v41
	s_waitcnt vmcnt(0)
	v_pk_mul_f32 v[72:73], v[68:69], v[24:25] op_sel:[0,1]
	v_pk_mul_f32 v[74:75], v[68:69], v[26:27] op_sel:[0,1]
	;; [unrolled: 1-line block ×8, first 2 shown]
	v_pk_fma_f32 v[90:91], v[68:69], v[24:25], v[72:73] op_sel:[0,0,1] op_sel_hi:[1,1,0] neg_lo:[0,0,1] neg_hi:[0,0,1]
	v_pk_fma_f32 v[24:25], v[68:69], v[24:25], v[72:73] op_sel:[0,0,1] op_sel_hi:[1,0,0]
	v_pk_fma_f32 v[72:73], v[68:69], v[26:27], v[74:75] op_sel:[0,0,1] op_sel_hi:[1,1,0] neg_lo:[0,0,1] neg_hi:[0,0,1]
	v_pk_fma_f32 v[26:27], v[68:69], v[26:27], v[74:75] op_sel:[0,0,1] op_sel_hi:[1,0,0]
	;; [unrolled: 2-line block ×8, first 2 shown]
	v_mov_b32_e32 v91, v25
	v_mov_b32_e32 v85, v37
	v_mov_b32_e32 v73, v27
	v_mov_b32_e32 v75, v29
	v_mov_b32_e32 v79, v31
	v_mov_b32_e32 v81, v33
	v_mov_b32_e32 v83, v35
	v_mov_b32_e32 v87, v39
	v_pk_add_f32 v[24:25], v[12:13], v[90:91] neg_lo:[0,1] neg_hi:[0,1]
	v_pk_add_f32 v[36:37], v[8:9], v[84:85] neg_lo:[0,1] neg_hi:[0,1]
	;; [unrolled: 1-line block ×8, first 2 shown]
	v_pk_fma_f32 v[12:13], v[12:13], 2.0, v[24:25] op_sel_hi:[1,0,1] neg_lo:[0,0,1] neg_hi:[0,0,1]
	v_pk_fma_f32 v[8:9], v[8:9], 2.0, v[36:37] op_sel_hi:[1,0,1] neg_lo:[0,0,1] neg_hi:[0,0,1]
	v_pk_fma_f32 v[14:15], v[14:15], 2.0, v[26:27] op_sel_hi:[1,0,1] neg_lo:[0,0,1] neg_hi:[0,0,1]
	v_pk_fma_f32 v[16:17], v[16:17], 2.0, v[28:29] op_sel_hi:[1,0,1] neg_lo:[0,0,1] neg_hi:[0,0,1]
	v_pk_fma_f32 v[18:19], v[18:19], 2.0, v[30:31] op_sel_hi:[1,0,1] neg_lo:[0,0,1] neg_hi:[0,0,1]
	v_pk_fma_f32 v[20:21], v[20:21], 2.0, v[32:33] op_sel_hi:[1,0,1] neg_lo:[0,0,1] neg_hi:[0,0,1]
	v_pk_fma_f32 v[22:23], v[22:23], 2.0, v[34:35] op_sel_hi:[1,0,1] neg_lo:[0,0,1] neg_hi:[0,0,1]
	ds_write2_b64 v67, v[12:13], v[24:25] offset1:2
	ds_write2_b64 v92, v[14:15], v[26:27] offset1:2
	;; [unrolled: 1-line block ×7, first 2 shown]
	v_pk_fma_f32 v[8:9], v[10:11], 2.0, v[38:39] op_sel_hi:[1,0,1] neg_lo:[0,0,1] neg_hi:[0,0,1]
	ds_write2_b64 v97, v[8:9], v[38:39] offset1:2
	v_and_or_b32 v8, v63, s13, v45
	v_lshl_add_u32 v12, v8, 3, 0
	v_pk_mul_f32 v[8:9], v[68:69], v[4:5] op_sel:[0,1]
	v_pk_mul_f32 v[70:71], v[70:71], v[68:69] op_sel_hi:[0,1]
	v_pk_fma_f32 v[10:11], v[68:69], v[4:5], v[8:9] op_sel:[0,0,1] op_sel_hi:[1,1,0] neg_lo:[0,0,1] neg_hi:[0,0,1]
	v_pk_fma_f32 v[4:5], v[68:69], v[4:5], v[8:9] op_sel:[0,0,1] op_sel_hi:[1,0,0]
	v_pk_fma_f32 v[88:89], v[40:41], v[68:69], v[70:71] op_sel:[0,0,1] op_sel_hi:[1,1,0] neg_lo:[0,0,1] neg_hi:[0,0,1]
	v_mov_b32_e32 v11, v5
	v_pk_add_f32 v[4:5], v[0:1], v[10:11] neg_lo:[0,1] neg_hi:[0,1]
	v_pk_fma_f32 v[40:41], v[40:41], v[68:69], v[70:71] op_sel:[0,0,1] op_sel_hi:[0,1,0]
	v_pk_fma_f32 v[0:1], v[0:1], 2.0, v[4:5] op_sel_hi:[1,0,1] neg_lo:[0,0,1] neg_hi:[0,0,1]
	ds_write2_b64 v12, v[0:1], v[4:5] offset1:2
	v_and_or_b32 v0, v52, s4, v45
	v_lshl_add_u32 v8, v0, 3, 0
	v_pk_mul_f32 v[0:1], v[68:69], v[6:7] op_sel:[0,1]
	v_mov_b32_e32 v89, v41
	v_pk_fma_f32 v[4:5], v[68:69], v[6:7], v[0:1] op_sel:[0,0,1] op_sel_hi:[1,1,0] neg_lo:[0,0,1] neg_hi:[0,0,1]
	v_pk_fma_f32 v[0:1], v[68:69], v[6:7], v[0:1] op_sel:[0,0,1] op_sel_hi:[1,0,0]
	v_pk_add_f32 v[40:41], v[42:43], v[88:89] neg_lo:[0,1] neg_hi:[0,1]
	v_mov_b32_e32 v5, v1
	v_pk_add_f32 v[0:1], v[2:3], v[4:5] neg_lo:[0,1] neg_hi:[0,1]
	v_pk_fma_f32 v[42:43], v[42:43], 2.0, v[40:41] op_sel_hi:[1,0,1] neg_lo:[0,0,1] neg_hi:[0,0,1]
	v_pk_fma_f32 v[2:3], v[2:3], 2.0, v[0:1] op_sel_hi:[1,0,1] neg_lo:[0,0,1] neg_hi:[0,0,1]
	v_lshlrev_b32_e32 v67, 1, v44
	ds_write2_b64 v8, v[2:3], v[0:1] offset1:2
	s_and_saveexec_b64 s[4:5], s[2:3]
	s_cbranch_execz .LBB0_27
; %bb.26:
	s_movk_i32 s12, 0x4fc
	v_and_or_b32 v0, v67, s12, v45
	v_lshl_add_u32 v0, v0, 3, 0
	ds_write2_b64 v0, v[42:43], v[40:41] offset1:2
.LBB0_27:
	s_or_b64 exec, exec, s[4:5]
	v_add_u32_e32 v0, 0x1000, v76
	s_waitcnt lgkmcnt(0)
	; wave barrier
	s_waitcnt lgkmcnt(0)
	ds_read2_b64 v[8:11], v76 offset1:56
	ds_read2_b64 v[24:27], v0 offset0:76 offset1:132
	ds_read2_b64 v[12:15], v76 offset0:112 offset1:168
	;; [unrolled: 1-line block ×3, first 2 shown]
	v_add_u32_e32 v0, 0x400, v76
	ds_read2_b64 v[16:19], v0 offset0:96 offset1:152
	v_add_u32_e32 v0, 0x1800, v76
	v_add_u32_e32 v1, 0x800, v76
	ds_read2_b64 v[32:35], v0 offset0:44 offset1:100
	ds_read2_b64 v[20:23], v1 offset0:80 offset1:136
	;; [unrolled: 1-line block ×4, first 2 shown]
	v_add_u32_e32 v4, 0x2000, v76
	ds_read2_b64 v[4:7], v4 offset0:12 offset1:68
	s_and_saveexec_b64 s[4:5], s[2:3]
	s_cbranch_execz .LBB0_29
; %bb.28:
	ds_read_b64 v[42:43], v76 offset:4480
	ds_read_b64 v[40:41], v76 offset:9184
.LBB0_29:
	s_or_b64 exec, exec, s[4:5]
	v_and_b32_e32 v68, 3, v62
	v_lshlrev_b32_e32 v44, 3, v68
	global_load_dwordx2 v[44:45], v44, s[8:9] offset:16
	s_movk_i32 s12, 0x1f8
	s_movk_i32 s13, 0x3f8
	;; [unrolled: 1-line block ×3, first 2 shown]
	v_and_or_b32 v54, v54, s12, v68
	v_and_or_b32 v55, v55, s12, v68
	;; [unrolled: 1-line block ×6, first 2 shown]
	v_lshl_add_u32 v69, v54, 3, 0
	v_lshl_add_u32 v77, v55, 3, 0
	;; [unrolled: 1-line block ×6, first 2 shown]
	s_movk_i32 s4, 0x78
	s_movk_i32 s5, 0xf8
	v_and_or_b32 v66, v66, s4, v68
	v_and_or_b32 v53, v53, s5, v68
	v_lshl_add_u32 v66, v66, 3, 0
	v_and_or_b32 v63, v63, s13, v68
	s_waitcnt lgkmcnt(0)
	; wave barrier
	s_waitcnt lgkmcnt(0)
	v_lshl_add_u32 v53, v53, 3, 0
	v_lshl_add_u32 v63, v63, 3, 0
	s_movk_i32 s4, 0x7f8
	s_waitcnt vmcnt(0)
	v_pk_mul_f32 v[54:55], v[44:45], v[24:25] op_sel:[0,1]
	v_pk_mul_f32 v[56:57], v[44:45], v[26:27] op_sel:[0,1]
	;; [unrolled: 1-line block ×9, first 2 shown]
	v_pk_fma_f32 v[84:85], v[44:45], v[24:25], v[54:55] op_sel:[0,0,1] op_sel_hi:[1,1,0] neg_lo:[0,0,1] neg_hi:[0,0,1]
	v_pk_fma_f32 v[24:25], v[44:45], v[24:25], v[54:55] op_sel:[0,0,1] op_sel_hi:[1,0,0]
	v_pk_fma_f32 v[54:55], v[44:45], v[26:27], v[56:57] op_sel:[0,0,1] op_sel_hi:[1,1,0] neg_lo:[0,0,1] neg_hi:[0,0,1]
	v_pk_fma_f32 v[26:27], v[44:45], v[26:27], v[56:57] op_sel:[0,0,1] op_sel_hi:[1,0,0]
	;; [unrolled: 2-line block ×9, first 2 shown]
	v_mov_b32_e32 v85, v25
	v_mov_b32_e32 v55, v27
	;; [unrolled: 1-line block ×9, first 2 shown]
	v_pk_add_f32 v[4:5], v[8:9], v[84:85] neg_lo:[0,1] neg_hi:[0,1]
	v_pk_add_f32 v[24:25], v[10:11], v[54:55] neg_lo:[0,1] neg_hi:[0,1]
	;; [unrolled: 1-line block ×8, first 2 shown]
	v_pk_fma_f32 v[8:9], v[8:9], 2.0, v[4:5] op_sel_hi:[1,0,1] neg_lo:[0,0,1] neg_hi:[0,0,1]
	v_pk_fma_f32 v[10:11], v[10:11], 2.0, v[24:25] op_sel_hi:[1,0,1] neg_lo:[0,0,1] neg_hi:[0,0,1]
	v_pk_fma_f32 v[12:13], v[12:13], 2.0, v[26:27] op_sel_hi:[1,0,1] neg_lo:[0,0,1] neg_hi:[0,0,1]
	v_pk_fma_f32 v[14:15], v[14:15], 2.0, v[28:29] op_sel_hi:[1,0,1] neg_lo:[0,0,1] neg_hi:[0,0,1]
	v_pk_fma_f32 v[16:17], v[16:17], 2.0, v[30:31] op_sel_hi:[1,0,1] neg_lo:[0,0,1] neg_hi:[0,0,1]
	v_pk_fma_f32 v[18:19], v[18:19], 2.0, v[32:33] op_sel_hi:[1,0,1] neg_lo:[0,0,1] neg_hi:[0,0,1]
	v_pk_fma_f32 v[20:21], v[20:21], 2.0, v[34:35] op_sel_hi:[1,0,1] neg_lo:[0,0,1] neg_hi:[0,0,1]
	v_pk_fma_f32 v[22:23], v[22:23], 2.0, v[36:37] op_sel_hi:[1,0,1] neg_lo:[0,0,1] neg_hi:[0,0,1]
	ds_write2_b64 v66, v[8:9], v[4:5] offset1:4
	ds_write2_b64 v53, v[10:11], v[24:25] offset1:4
	;; [unrolled: 1-line block ×8, first 2 shown]
	v_pk_add_f32 v[4:5], v[0:1], v[80:81] neg_lo:[0,1] neg_hi:[0,1]
	s_nop 0
	v_pk_fma_f32 v[0:1], v[0:1], 2.0, v[4:5] op_sel_hi:[1,0,1] neg_lo:[0,0,1] neg_hi:[0,0,1]
	ds_write2_b64 v63, v[0:1], v[4:5] offset1:4
	v_and_or_b32 v0, v52, s4, v68
	v_lshl_add_u32 v8, v0, 3, 0
	v_pk_mul_f32 v[0:1], v[44:45], v[6:7] op_sel:[0,1]
	s_nop 0
	v_pk_fma_f32 v[4:5], v[44:45], v[6:7], v[0:1] op_sel:[0,0,1] op_sel_hi:[1,1,0] neg_lo:[0,0,1] neg_hi:[0,0,1]
	v_pk_fma_f32 v[0:1], v[44:45], v[6:7], v[0:1] op_sel:[0,0,1] op_sel_hi:[1,0,0]
	s_nop 0
	v_mov_b32_e32 v5, v1
	v_pk_add_f32 v[0:1], v[2:3], v[4:5] neg_lo:[0,1] neg_hi:[0,1]
	s_nop 0
	v_pk_fma_f32 v[2:3], v[2:3], 2.0, v[0:1] op_sel_hi:[1,0,1] neg_lo:[0,0,1] neg_hi:[0,0,1]
	ds_write2_b64 v8, v[2:3], v[0:1] offset1:4
	s_and_saveexec_b64 s[4:5], s[2:3]
	s_cbranch_execz .LBB0_31
; %bb.30:
	v_mov_b32_e32 v0, v41
	s_movk_i32 s2, 0x4f8
	v_pk_mul_f32 v[0:1], v[0:1], v[44:45] op_sel_hi:[0,1]
	v_and_or_b32 v2, v67, s2, v68
	v_lshl_add_u32 v4, v2, 3, 0
	v_pk_fma_f32 v[2:3], v[40:41], v[44:45], v[0:1] op_sel:[0,0,1] op_sel_hi:[1,1,0] neg_lo:[0,0,1] neg_hi:[0,0,1]
	v_pk_fma_f32 v[0:1], v[40:41], v[44:45], v[0:1] op_sel:[0,0,1] op_sel_hi:[0,1,0]
	v_mov_b32_e32 v3, v1
	v_pk_add_f32 v[0:1], v[42:43], v[2:3] neg_lo:[0,1] neg_hi:[0,1]
	s_nop 0
	v_pk_fma_f32 v[2:3], v[42:43], 2.0, v[0:1] op_sel_hi:[1,0,1] neg_lo:[0,0,1] neg_hi:[0,0,1]
	ds_write2_b64 v4, v[2:3], v[0:1] offset1:4
.LBB0_31:
	s_or_b64 exec, exec, s[4:5]
	v_and_b32_e32 v52, 7, v62
	v_lshlrev_b32_e32 v0, 4, v52
	s_waitcnt lgkmcnt(0)
	; wave barrier
	s_waitcnt lgkmcnt(0)
	global_load_dwordx4 v[0:3], v0, s[8:9] offset:48
	v_add_u32_e32 v78, 0x800, v76
	v_add_u32_e32 v63, 0x1800, v76
	ds_read_b64 v[44:45], v76 offset:8960
	ds_read2_b64 v[4:7], v76 offset0:112 offset1:168
	ds_read2_b64 v[8:11], v76 offset1:56
	ds_read2_b64 v[12:15], v78 offset0:80 offset1:136
	ds_read2_b64 v[16:19], v63 offset0:16 offset1:72
	;; [unrolled: 1-line block ×3, first 2 shown]
	v_lshrrev_b32_e32 v24, 3, v62
	v_lshrrev_b32_e32 v25, 3, v46
	;; [unrolled: 1-line block ×7, first 2 shown]
	v_add_u32_e32 v77, 0x1000, v76
	v_add_u32_e32 v79, 0x400, v76
	;; [unrolled: 1-line block ×3, first 2 shown]
	v_mul_u32_u24_e32 v48, 24, v24
	v_mul_u32_u24_e32 v49, 24, v25
	;; [unrolled: 1-line block ×7, first 2 shown]
	ds_read2_b64 v[24:27], v77 offset0:160 offset1:216
	ds_read2_b64 v[28:31], v79 offset0:96 offset1:152
	;; [unrolled: 1-line block ×5, first 2 shown]
	v_or_b32_e32 v48, v48, v52
	v_or_b32_e32 v49, v49, v52
	;; [unrolled: 1-line block ×7, first 2 shown]
	v_lshl_add_u32 v72, v48, 3, 0
	v_lshl_add_u32 v73, v49, 3, 0
	;; [unrolled: 1-line block ×7, first 2 shown]
	s_mov_b32 s2, 0x3f5db3d7
	s_waitcnt lgkmcnt(0)
	; wave barrier
	s_waitcnt lgkmcnt(0)
	s_mov_b32 s4, 0x3eae86e6
	s_mov_b32 s5, 0xbf08b237
	;; [unrolled: 1-line block ×11, first 2 shown]
	s_waitcnt vmcnt(0)
	v_pk_mul_f32 v[48:49], v[0:1], v[20:21] op_sel:[0,1]
	v_pk_mul_f32 v[50:51], v[2:3], v[18:19] op_sel:[0,1]
	;; [unrolled: 1-line block ×3, first 2 shown]
	v_mov_b32_e32 v54, v3
	v_pk_fma_f32 v[66:67], v[0:1], v[20:21], v[48:49] op_sel:[0,0,1] op_sel_hi:[1,1,0] neg_lo:[0,0,1] neg_hi:[0,0,1]
	v_pk_fma_f32 v[20:21], v[0:1], v[20:21], v[48:49] op_sel:[0,0,1] op_sel_hi:[1,0,0]
	v_pk_fma_f32 v[48:49], v[2:3], v[18:19], v[50:51] op_sel:[0,0,1] op_sel_hi:[1,1,0] neg_lo:[0,0,1] neg_hi:[0,0,1]
	v_pk_fma_f32 v[18:19], v[2:3], v[18:19], v[50:51] op_sel:[0,0,1] op_sel_hi:[1,0,0]
	;; [unrolled: 2-line block ×3, first 2 shown]
	v_pk_mul_f32 v[52:53], v[44:45], v[54:55] op_sel_hi:[1,0]
	v_mov_b32_e32 v67, v21
	v_mov_b32_e32 v49, v19
	v_pk_fma_f32 v[18:19], v[44:45], v[2:3], v[52:53] op_sel:[0,0,1] op_sel_hi:[1,1,0] neg_lo:[0,0,1] neg_hi:[0,0,1]
	v_pk_fma_f32 v[20:21], v[44:45], v[2:3], v[52:53] op_sel:[0,0,1] op_sel_hi:[1,0,0]
	v_pk_mul_f32 v[44:45], v[36:37], v[0:1] op_sel:[0,1]
	v_pk_mul_f32 v[56:57], v[24:25], v[0:1] op_sel:[0,1]
	v_pk_fma_f32 v[52:53], v[36:37], v[0:1], v[44:45] op_sel:[0,0,1] op_sel_hi:[1,1,0] neg_lo:[0,0,1] neg_hi:[0,0,1]
	v_pk_fma_f32 v[36:37], v[36:37], v[0:1], v[44:45] op_sel:[0,0,1] op_sel_hi:[1,0,0]
	v_pk_fma_f32 v[68:69], v[24:25], v[0:1], v[56:57] op_sel:[0,0,1] op_sel_hi:[1,1,0] neg_lo:[0,0,1] neg_hi:[0,0,1]
	v_mov_b32_e32 v53, v37
	v_pk_mul_f32 v[36:37], v[42:43], v[54:55] op_sel_hi:[1,0]
	v_pk_fma_f32 v[24:25], v[24:25], v[0:1], v[56:57] op_sel:[0,0,1] op_sel_hi:[1,0,0]
	v_pk_mul_f32 v[56:57], v[34:35], v[54:55] op_sel_hi:[1,0]
	v_pk_fma_f32 v[44:45], v[42:43], v[2:3], v[36:37] op_sel:[0,0,1] op_sel_hi:[1,1,0] neg_lo:[0,0,1] neg_hi:[0,0,1]
	v_pk_fma_f32 v[36:37], v[42:43], v[2:3], v[36:37] op_sel:[0,0,1] op_sel_hi:[1,0,0]
	v_pk_mul_f32 v[42:43], v[22:23], v[0:1] op_sel:[0,1]
	v_mov_b32_e32 v51, v27
	v_mov_b32_e32 v69, v25
	v_pk_fma_f32 v[24:25], v[34:35], v[2:3], v[56:57] op_sel:[0,0,1] op_sel_hi:[1,1,0] neg_lo:[0,0,1] neg_hi:[0,0,1]
	v_pk_fma_f32 v[26:27], v[34:35], v[2:3], v[56:57] op_sel:[0,0,1] op_sel_hi:[1,0,0]
	v_pk_fma_f32 v[56:57], v[22:23], v[0:1], v[42:43] op_sel:[0,0,1] op_sel_hi:[1,1,0] neg_lo:[0,0,1] neg_hi:[0,0,1]
	v_pk_fma_f32 v[22:23], v[22:23], v[0:1], v[42:43] op_sel:[0,0,1] op_sel_hi:[1,0,0]
	v_pk_mul_f32 v[58:59], v[38:39], v[0:1] op_sel:[0,1]
	v_mov_b32_e32 v57, v23
	v_pk_mul_f32 v[22:23], v[40:41], v[54:55] op_sel_hi:[1,0]
	v_pk_fma_f32 v[70:71], v[38:39], v[0:1], v[58:59] op_sel:[0,0,1] op_sel_hi:[1,1,0] neg_lo:[0,0,1] neg_hi:[0,0,1]
	v_pk_fma_f32 v[42:43], v[40:41], v[2:3], v[22:23] op_sel:[0,0,1] op_sel_hi:[1,1,0] neg_lo:[0,0,1] neg_hi:[0,0,1]
	v_pk_fma_f32 v[22:23], v[40:41], v[2:3], v[22:23] op_sel:[0,0,1] op_sel_hi:[1,0,0]
	v_pk_mul_f32 v[40:41], v[0:1], v[14:15] op_sel:[0,1]
	v_pk_fma_f32 v[38:39], v[38:39], v[0:1], v[58:59] op_sel:[0,0,1] op_sel_hi:[1,0,0]
	v_pk_mul_f32 v[58:59], v[32:33], v[54:55] op_sel_hi:[1,0]
	v_pk_fma_f32 v[54:55], v[0:1], v[14:15], v[40:41] op_sel:[0,0,1] op_sel_hi:[1,1,0] neg_lo:[0,0,1] neg_hi:[0,0,1]
	v_pk_fma_f32 v[0:1], v[0:1], v[14:15], v[40:41] op_sel:[0,0,1] op_sel_hi:[1,0,0]
	v_pk_fma_f32 v[34:35], v[32:33], v[2:3], v[58:59] op_sel:[0,0,1] op_sel_hi:[1,1,0] neg_lo:[0,0,1] neg_hi:[0,0,1]
	v_mov_b32_e32 v55, v1
	v_pk_mul_f32 v[0:1], v[2:3], v[16:17] op_sel:[0,1]
	v_pk_fma_f32 v[32:33], v[32:33], v[2:3], v[58:59] op_sel:[0,0,1] op_sel_hi:[1,0,0]
	v_pk_fma_f32 v[14:15], v[2:3], v[16:17], v[0:1] op_sel:[0,0,1] op_sel_hi:[1,1,0] neg_lo:[0,0,1] neg_hi:[0,0,1]
	v_pk_fma_f32 v[0:1], v[2:3], v[16:17], v[0:1] op_sel:[0,0,1] op_sel_hi:[1,0,0]
	v_mov_b32_e32 v71, v39
	v_mov_b32_e32 v15, v1
	v_pk_add_f32 v[2:3], v[54:55], v[14:15]
	v_pk_add_f32 v[0:1], v[8:9], v[54:55]
	v_pk_fma_f32 v[2:3], v[2:3], 0.5, v[8:9] op_sel_hi:[1,0,1] neg_lo:[1,0,0] neg_hi:[1,0,0]
	v_pk_add_f32 v[8:9], v[54:55], v[14:15] neg_lo:[0,1] neg_hi:[0,1]
	v_pk_add_f32 v[0:1], v[0:1], v[14:15]
	v_pk_mul_f32 v[8:9], v[8:9], s[2:3] op_sel_hi:[1,0]
	v_pk_add_f32 v[38:39], v[10:11], v[66:67]
	v_pk_add_f32 v[14:15], v[2:3], v[8:9] op_sel:[0,1] op_sel_hi:[1,0]
	v_pk_add_f32 v[2:3], v[2:3], v[8:9] op_sel:[0,1] op_sel_hi:[1,0] neg_lo:[0,1] neg_hi:[0,1]
	v_mov_b32_e32 v8, v14
	v_mov_b32_e32 v9, v3
	;; [unrolled: 1-line block ×3, first 2 shown]
	ds_write2_b64 v72, v[0:1], v[8:9] offset1:8
	ds_write_b64 v72, v[2:3] offset:128
	v_pk_add_f32 v[0:1], v[66:67], v[48:49]
	v_pk_add_f32 v[2:3], v[66:67], v[48:49] neg_lo:[0,1] neg_hi:[0,1]
	v_pk_fma_f32 v[0:1], v[0:1], 0.5, v[10:11] op_sel_hi:[1,0,1] neg_lo:[1,0,0] neg_hi:[1,0,0]
	v_pk_mul_f32 v[2:3], v[2:3], s[2:3] op_sel_hi:[1,0]
	v_pk_add_f32 v[38:39], v[38:39], v[48:49]
	v_pk_add_f32 v[8:9], v[0:1], v[2:3] op_sel:[0,1] op_sel_hi:[1,0]
	v_pk_add_f32 v[0:1], v[0:1], v[2:3] op_sel:[0,1] op_sel_hi:[1,0] neg_lo:[0,1] neg_hi:[0,1]
	v_mov_b32_e32 v43, v23
	v_mov_b32_e32 v2, v8
	v_mov_b32_e32 v3, v1
	v_mov_b32_e32 v1, v9
	ds_write2_b64 v73, v[38:39], v[2:3] offset1:8
	ds_write_b64 v73, v[0:1] offset:128
	v_pk_add_f32 v[0:1], v[56:57], v[42:43]
	v_pk_add_f32 v[2:3], v[56:57], v[42:43] neg_lo:[0,1] neg_hi:[0,1]
	v_pk_fma_f32 v[0:1], v[0:1], 0.5, v[4:5] op_sel_hi:[1,0,1] neg_lo:[1,0,0] neg_hi:[1,0,0]
	v_pk_mul_f32 v[2:3], v[2:3], s[2:3] op_sel_hi:[1,0]
	v_pk_add_f32 v[22:23], v[4:5], v[56:57]
	v_pk_add_f32 v[4:5], v[0:1], v[2:3] op_sel:[0,1] op_sel_hi:[1,0]
	v_pk_add_f32 v[0:1], v[0:1], v[2:3] op_sel:[0,1] op_sel_hi:[1,0] neg_lo:[0,1] neg_hi:[0,1]
	v_mov_b32_e32 v45, v37
	v_pk_add_f32 v[22:23], v[22:23], v[42:43]
	v_mov_b32_e32 v2, v4
	v_mov_b32_e32 v3, v1
	v_mov_b32_e32 v1, v5
	ds_write2_b64 v74, v[22:23], v[2:3] offset1:8
	ds_write_b64 v74, v[0:1] offset:128
	v_pk_add_f32 v[0:1], v[52:53], v[44:45]
	v_pk_add_f32 v[2:3], v[52:53], v[44:45] neg_lo:[0,1] neg_hi:[0,1]
	v_pk_fma_f32 v[0:1], v[0:1], 0.5, v[6:7] op_sel_hi:[1,0,1] neg_lo:[1,0,0] neg_hi:[1,0,0]
	v_pk_mul_f32 v[2:3], v[2:3], s[2:3] op_sel_hi:[1,0]
	v_pk_add_f32 v[36:37], v[6:7], v[52:53]
	v_pk_add_f32 v[4:5], v[0:1], v[2:3] op_sel:[0,1] op_sel_hi:[1,0]
	v_pk_add_f32 v[0:1], v[0:1], v[2:3] op_sel:[0,1] op_sel_hi:[1,0] neg_lo:[0,1] neg_hi:[0,1]
	v_mov_b32_e32 v35, v33
	v_pk_add_f32 v[36:37], v[36:37], v[44:45]
	v_mov_b32_e32 v2, v4
	v_mov_b32_e32 v3, v1
	v_mov_b32_e32 v1, v5
	;; [unrolled: 14-line block ×4, first 2 shown]
	ds_write2_b64 v82, v[26:27], v[2:3] offset1:8
	ds_write_b64 v82, v[0:1] offset:128
	v_pk_add_f32 v[0:1], v[50:51], v[18:19]
	v_pk_add_f32 v[2:3], v[50:51], v[18:19] neg_lo:[0,1] neg_hi:[0,1]
	v_pk_fma_f32 v[0:1], v[0:1], 0.5, v[12:13] op_sel_hi:[1,0,1] neg_lo:[1,0,0] neg_hi:[1,0,0]
	v_pk_mul_f32 v[2:3], v[2:3], s[2:3] op_sel_hi:[1,0]
	s_movk_i32 s2, 0xab
	v_pk_add_f32 v[4:5], v[0:1], v[2:3] op_sel:[0,1] op_sel_hi:[1,0]
	v_pk_add_f32 v[0:1], v[0:1], v[2:3] op_sel:[0,1] op_sel_hi:[1,0] neg_lo:[0,1] neg_hi:[0,1]
	v_mov_b32_e32 v2, v4
	v_mov_b32_e32 v3, v1
	;; [unrolled: 1-line block ×3, first 2 shown]
	ds_write_b64 v83, v[0:1] offset:128
	v_mul_lo_u16_sdwa v0, v47, s2 dst_sel:DWORD dst_unused:UNUSED_PAD src0_sel:BYTE_0 src1_sel:DWORD
	v_lshrrev_b16_e32 v45, 12, v0
	v_mul_lo_u16_e32 v0, 24, v45
	v_mov_b32_e32 v4, 6
	v_sub_u16_e32 v47, v47, v0
	v_pk_add_f32 v[20:21], v[12:13], v[50:51]
	v_mul_u32_u24_sdwa v0, v47, v4 dst_sel:DWORD dst_unused:UNUSED_PAD src0_sel:BYTE_0 src1_sel:DWORD
	v_pk_add_f32 v[20:21], v[20:21], v[18:19]
	v_lshlrev_b32_e32 v5, 3, v0
	ds_write2_b64 v83, v[20:21], v[2:3] offset1:8
	s_waitcnt lgkmcnt(0)
	; wave barrier
	s_waitcnt lgkmcnt(0)
	global_load_dwordx4 v[40:43], v5, s[8:9] offset:176
	global_load_dwordx4 v[0:3], v5, s[8:9] offset:192
	;; [unrolled: 1-line block ×3, first 2 shown]
	v_mul_lo_u16_sdwa v5, v46, s2 dst_sel:DWORD dst_unused:UNUSED_PAD src0_sel:BYTE_0 src1_sel:DWORD
	v_lshrrev_b16_e32 v48, 12, v5
	v_mul_lo_u16_e32 v5, 24, v48
	v_sub_u16_e32 v46, v46, v5
	v_mul_u32_u24_sdwa v5, v46, v4 dst_sel:DWORD dst_unused:UNUSED_PAD src0_sel:BYTE_0 src1_sel:DWORD
	v_lshlrev_b32_e32 v8, 3, v5
	v_mul_lo_u16_sdwa v5, v62, s2 dst_sel:DWORD dst_unused:UNUSED_PAD src0_sel:BYTE_0 src1_sel:DWORD
	v_lshrrev_b16_e32 v49, 12, v5
	v_mul_lo_u16_e32 v5, 24, v49
	global_load_dwordx4 v[28:31], v8, s[8:9] offset:176
	global_load_dwordx4 v[24:27], v8, s[8:9] offset:208
	v_sub_u16_e32 v70, v62, v5
	v_mul_u32_u24_sdwa v4, v70, v4 dst_sel:DWORD dst_unused:UNUSED_PAD src0_sel:BYTE_0 src1_sel:DWORD
	v_lshlrev_b32_e32 v68, 3, v4
	global_load_dwordx4 v[4:7], v68, s[8:9] offset:208
	global_load_dwordx4 v[16:19], v8, s[8:9] offset:192
	ds_read2_b64 v[8:11], v78 offset0:192 offset1:248
	ds_read2_b64 v[20:23], v77 offset0:48 offset1:104
	;; [unrolled: 1-line block ×5, first 2 shown]
	ds_read_b64 v[74:75], v76 offset:8960
	s_mov_b32 s2, 0x3ee1c552
	s_waitcnt vmcnt(6) lgkmcnt(5)
	v_pk_mul_f32 v[50:51], v[8:9], v[42:43]
	s_nop 0
	v_mov_b32_e32 v44, v51
	s_waitcnt vmcnt(4) lgkmcnt(2)
	v_pk_mul_f32 v[66:67], v[34:35], v[36:37]
	global_load_dwordx4 v[50:53], v68, s[8:9] offset:176
	v_pk_fma_f32 v[58:59], v[8:9], v[42:43], v[44:45] neg_lo:[0,0,1] neg_hi:[0,0,1]
	v_mov_b32_e32 v44, v67
	global_load_dwordx4 v[66:69], v68, s[8:9] offset:192
	v_pk_fma_f32 v[72:73], v[34:35], v[36:37], v[44:45] neg_lo:[0,0,1] neg_hi:[0,0,1]
	s_waitcnt lgkmcnt(1)
	v_pk_mul_f32 v[82:83], v[56:57], v[40:41] op_sel_hi:[1,0]
	v_mov_b32_e32 v44, v41
	v_mul_f32_e32 v71, v13, v2
	v_pk_fma_f32 v[84:85], v[56:57], v[44:45], v[82:83] op_sel:[0,0,1] op_sel_hi:[1,1,0]
	v_pk_fma_f32 v[82:83], v[56:57], v[40:41], v[82:83] op_sel:[0,1,1] op_sel_hi:[1,1,0] neg_lo:[1,0,0] neg_hi:[1,0,0]
	v_mov_b32_e32 v40, v9
	v_mov_b32_e32 v57, v2
	v_mov_b32_e32 v9, v13
	v_mov_b32_e32 v2, v43
	v_mov_b32_e32 v41, v12
	v_mov_b32_e32 v56, v42
	v_pk_mul_f32 v[8:9], v[8:9], v[2:3]
	v_mul_f32_e32 v59, v23, v0
	v_pk_fma_f32 v[42:43], v[40:41], v[42:43], v[8:9]
	v_pk_fma_f32 v[40:41], v[40:41], v[56:57], v[8:9] neg_lo:[0,0,1] neg_hi:[0,0,1]
	v_mov_b32_e32 v8, v35
	v_mov_b32_e32 v57, v0
	;; [unrolled: 1-line block ×6, first 2 shown]
	v_pk_mul_f32 v[34:35], v[34:35], v[0:1]
	v_mov_b32_e32 v0, v39
	v_pk_fma_f32 v[86:87], v[8:9], v[36:37], v[34:35]
	v_pk_fma_f32 v[34:35], v[8:9], v[56:57], v[34:35] neg_lo:[0,0,1] neg_hi:[0,0,1]
	s_waitcnt lgkmcnt(0)
	v_pk_mul_f32 v[8:9], v[74:75], v[38:39] op_sel_hi:[1,0]
	v_mov_b32_e32 v2, v39
	ds_read2_b64 v[36:39], v80 offset0:112 offset1:168
	v_pk_fma_f32 v[88:89], v[74:75], v[0:1], v[8:9] op_sel:[0,0,1] op_sel_hi:[1,1,0]
	v_pk_fma_f32 v[74:75], v[74:75], v[2:3], v[8:9] op_sel:[0,0,1] op_sel_hi:[1,0,0] neg_lo:[1,0,0] neg_hi:[1,0,0]
	s_waitcnt vmcnt(5)
	v_pk_mul_f32 v[8:9], v[54:55], v[28:29] op_sel_hi:[1,0]
	v_mov_b32_e32 v0, v29
	v_pk_fma_f32 v[90:91], v[54:55], v[0:1], v[8:9] op_sel:[0,0,1] op_sel_hi:[1,1,0]
	v_pk_fma_f32 v[28:29], v[54:55], v[28:29], v[8:9] op_sel:[0,1,1] op_sel_hi:[1,1,0] neg_lo:[1,0,0] neg_hi:[1,0,0]
	s_waitcnt vmcnt(4) lgkmcnt(0)
	v_pk_mul_f32 v[8:9], v[38:39], v[26:27] op_sel_hi:[1,0]
	v_mov_b32_e32 v0, v27
	v_mov_b32_e32 v2, v27
	ds_read2_b64 v[54:57], v78 offset0:80 offset1:136
	v_pk_fma_f32 v[92:93], v[38:39], v[0:1], v[8:9] op_sel:[0,0,1] op_sel_hi:[1,1,0]
	v_pk_fma_f32 v[94:95], v[38:39], v[2:3], v[8:9] op_sel:[0,0,1] op_sel_hi:[1,0,0] neg_lo:[1,0,0] neg_hi:[1,0,0]
	s_waitcnt vmcnt(3)
	v_pk_mul_f32 v[8:9], v[36:37], v[6:7] op_sel_hi:[1,0]
	v_mov_b32_e32 v0, v7
	v_mov_b32_e32 v2, v7
	v_pk_fma_f32 v[96:97], v[36:37], v[0:1], v[8:9] op_sel:[0,0,1] op_sel_hi:[1,1,0]
	v_pk_fma_f32 v[98:99], v[36:37], v[2:3], v[8:9] op_sel:[0,0,1] op_sel_hi:[1,0,0] neg_lo:[1,0,0] neg_hi:[1,0,0]
	ds_read2_b64 v[36:39], v77 offset0:160 offset1:216
	s_waitcnt lgkmcnt(1)
	v_pk_mul_f32 v[6:7], v[56:57], v[30:31]
	s_waitcnt vmcnt(2)
	v_mov_b32_e32 v9, v18
	v_mov_b32_e32 v0, v7
	v_pk_fma_f32 v[100:101], v[56:57], v[30:31], v[0:1] neg_lo:[0,0,1] neg_hi:[0,0,1]
	v_mov_b32_e32 v6, v57
	s_waitcnt lgkmcnt(0)
	v_mov_b32_e32 v57, v39
	v_mul_f32_e32 v13, v39, v18
	v_mov_b32_e32 v18, v31
	v_mov_b32_e32 v7, v38
	;; [unrolled: 1-line block ×3, first 2 shown]
	v_pk_mul_f32 v[26:27], v[56:57], v[18:19]
	v_mul_f32_e32 v101, v21, v16
	v_pk_fma_f32 v[30:31], v[6:7], v[30:31], v[26:27]
	v_pk_fma_f32 v[26:27], v[6:7], v[8:9], v[26:27] neg_lo:[0,0,1] neg_hi:[0,0,1]
	v_pk_mul_f32 v[6:7], v[32:33], v[24:25]
	v_mov_b32_e32 v9, v16
	v_mov_b32_e32 v0, v7
	v_pk_fma_f32 v[56:57], v[32:33], v[24:25], v[0:1] neg_lo:[0,0,1] neg_hi:[0,0,1]
	v_mov_b32_e32 v6, v33
	v_mov_b32_e32 v33, v21
	;; [unrolled: 1-line block ×3, first 2 shown]
	v_pk_mul_f32 v[32:33], v[32:33], v[16:17]
	v_mov_b32_e32 v7, v20
	v_mov_b32_e32 v8, v24
	v_pk_fma_f32 v[24:25], v[6:7], v[24:25], v[32:33]
	v_pk_fma_f32 v[32:33], v[6:7], v[8:9], v[32:33] neg_lo:[0,0,1] neg_hi:[0,0,1]
	ds_read2_b64 v[6:9], v76 offset0:112 offset1:168
	v_mov_b32_e32 v102, v55
	v_mul_f32_e32 v73, v22, v1
	s_waitcnt vmcnt(1)
	v_mul_f32_e32 v0, v53, v55
	v_mov_b32_e32 v55, v37
	v_mov_b32_e32 v104, v53
	s_waitcnt vmcnt(0)
	v_mov_b32_e32 v105, v69
	v_fma_f32 v0, v52, v54, -v0
	v_pk_mul_f32 v[54:55], v[104:105], v[54:55]
	s_waitcnt lgkmcnt(0)
	v_mov_b32_e32 v2, v9
	v_pk_mul_f32 v[104:105], v[50:51], v[8:9] op_sel_hi:[1,0]
	v_pk_mul_f32 v[22:23], v[14:15], v[4:5]
	v_pk_fma_f32 v[106:107], v[50:51], v[2:3], v[104:105] op_sel:[0,0,1] op_sel_hi:[1,1,0]
	v_mul_f32_e32 v57, v20, v17
	v_mul_f32_e32 v17, v38, v19
	;; [unrolled: 1-line block ×4, first 2 shown]
	v_mov_b32_e32 v2, v23
	v_mul_f32_e32 v1, v66, v11
	v_pk_fma_f32 v[22:23], v[14:15], v[4:5], v[2:3] neg_lo:[0,0,1] neg_hi:[0,0,1]
	v_mov_b32_e32 v37, v66
	v_mov_b32_e32 v66, v5
	;; [unrolled: 1-line block ×4, first 2 shown]
	v_pk_fma_f32 v[8:9], v[50:51], v[8:9], v[104:105] op_sel:[0,1,1] op_sel_hi:[1,1,0] neg_lo:[1,0,0] neg_hi:[1,0,0]
	v_mov_b32_e32 v103, v36
	v_mov_b32_e32 v50, v52
	;; [unrolled: 1-line block ×3, first 2 shown]
	v_mul_f32_e32 v21, v69, v36
	v_pk_mul_f32 v[14:15], v[66:67], v[14:15]
	v_mov_b32_e32 v39, v10
	v_mov_b32_e32 v36, v4
	v_pk_fma_f32 v[52:53], v[52:53], v[102:103], v[54:55]
	v_pk_fma_f32 v[50:51], v[50:51], v[102:103], v[54:55] neg_lo:[0,0,1] neg_hi:[0,0,1]
	v_mul_f32_e32 v23, v67, v10
	v_pk_fma_f32 v[4:5], v[4:5], v[38:39], v[14:15]
	v_pk_fma_f32 v[10:11], v[36:37], v[38:39], v[14:15] neg_lo:[0,0,1] neg_hi:[0,0,1]
	v_mov_b32_e32 v2, v9
	v_mov_b32_e32 v20, v99
	;; [unrolled: 1-line block ×6, first 2 shown]
	v_pk_add_f32 v[8:9], v[2:3], v[20:21]
	v_pk_add_f32 v[20:21], v[0:1], v[22:23]
	v_pk_add_f32 v[36:37], v[106:107], v[96:97] neg_lo:[0,1] neg_hi:[0,1]
	v_pk_add_f32 v[38:39], v[52:53], v[4:5]
	v_pk_add_f32 v[4:5], v[52:53], v[4:5] neg_lo:[0,1] neg_hi:[0,1]
	v_mov_b32_e32 v2, v9
	v_mov_b32_e32 v3, v0
	v_mov_b32_e32 v0, v21
	v_mov_b32_e32 v1, v22
	v_pk_add_f32 v[22:23], v[2:3], v[0:1] neg_lo:[0,1] neg_hi:[0,1]
	v_mov_b32_e32 v0, v36
	v_mov_b32_e32 v1, v5
	v_pk_add_f32 v[52:53], v[0:1], v[22:23] neg_lo:[0,1] neg_hi:[0,1]
	v_mov_b32_e32 v0, v22
	v_mov_b32_e32 v1, v37
	v_pk_add_f32 v[0:1], v[0:1], v[4:5] neg_lo:[0,1] neg_hi:[0,1]
	v_pk_add_f32 v[14:15], v[106:107], v[96:97]
	v_pk_mul_f32 v[54:55], v[0:1], s[14:15]
	v_pk_add_f32 v[0:1], v[4:5], v[22:23]
	v_mov_b32_e32 v2, v51
	v_pk_add_f32 v[66:67], v[0:1], v[36:37]
	v_mov_b32_e32 v0, v11
	v_mov_b32_e32 v1, v38
	;; [unrolled: 1-line block ×3, first 2 shown]
	v_pk_add_f32 v[0:1], v[0:1], v[2:3]
	v_pk_add_f32 v[10:11], v[20:21], v[8:9]
	v_mov_b32_e32 v2, v0
	v_mov_b32_e32 v21, v11
	;; [unrolled: 1-line block ×3, first 2 shown]
	v_pk_add_f32 v[10:11], v[10:11], v[0:1]
	v_mov_b32_e32 v1, v38
	v_pk_add_f32 v[50:51], v[2:3], v[20:21] neg_lo:[0,1] neg_hi:[0,1]
	v_pk_add_f32 v[68:69], v[8:9], v[0:1] neg_lo:[0,1] neg_hi:[0,1]
	ds_read2_b64 v[0:3], v76 offset1:56
	v_pk_mul_f32 v[50:51], v[50:51], s[22:23]
	v_pk_fma_f32 v[98:99], v[52:53], s[4:5], v[54:55]
	v_pk_fma_f32 v[96:97], v[68:69], s[18:19], v[50:51]
	v_pk_fma_f32 v[98:99], v[66:67], s[2:3], v[98:99] op_sel_hi:[1,0,1]
	s_waitcnt lgkmcnt(0)
	v_pk_add_f32 v[0:1], v[10:11], v[0:1]
	v_mov_b32_e32 v9, 3
	v_pk_fma_f32 v[10:11], v[10:11], s[20:21], v[0:1] op_sel_hi:[1,0,1] neg_lo:[1,0,0] neg_hi:[1,0,0]
	v_mul_u32_u24_e32 v5, 0x540, v49
	v_pk_add_f32 v[96:97], v[96:97], v[10:11]
	v_lshlrev_b32_sdwa v12, v9, v70 dst_sel:DWORD dst_unused:UNUSED_PAD src0_sel:DWORD src1_sel:BYTE_0
	v_pk_add_f32 v[102:103], v[96:97], v[98:99]
	v_pk_add_f32 v[96:97], v[96:97], v[98:99] neg_lo:[0,1] neg_hi:[0,1]
	v_add3_u32 v32, 0, v5, v12
	v_mov_b32_e32 v98, v102
	v_mov_b32_e32 v99, v97
	;; [unrolled: 1-line block ×4, first 2 shown]
	s_waitcnt lgkmcnt(0)
	; wave barrier
	ds_write2_b64 v32, v[0:1], v[98:99] offset1:24
	v_pk_add_f32 v[0:1], v[84:85], v[88:89]
	v_lshlrev_b32_sdwa v5, v9, v46 dst_sel:DWORD dst_unused:UNUSED_PAD src0_sel:DWORD src1_sel:BYTE_0
	v_mul_u32_u24_e32 v1, 0x540, v48
	v_add3_u32 v1, 0, v1, v5
	v_lshlrev_b32_sdwa v5, v9, v47 dst_sel:DWORD dst_unused:UNUSED_PAD src0_sel:DWORD src1_sel:BYTE_0
	v_mul_u32_u24_e32 v9, 0x540, v45
	v_add3_u32 v34, 0, v9, v5
	v_mov_b32_e32 v5, v23
	v_pk_mul_f32 v[48:49], v[52:53], s[4:5]
	v_pk_mul_f32 v[52:53], v[68:69], s[18:19]
	v_mov_b32_e32 v21, v38
	v_mov_b32_e32 v9, v14
	v_pk_add_f32 v[4:5], v[4:5], v[36:37] neg_lo:[0,1] neg_hi:[0,1]
	v_pk_add_f32 v[8:9], v[20:21], v[8:9] neg_lo:[0,1] neg_hi:[0,1]
	v_mov_b32_e32 v14, v52
	v_mov_b32_e32 v15, v51
	;; [unrolled: 1-line block ×8, first 2 shown]
	v_pk_fma_f32 v[14:15], v[8:9], s[16:17], v[14:15] op_sel_hi:[1,0,1] neg_lo:[1,0,1] neg_hi:[1,0,1]
	v_pk_fma_f32 v[20:21], v[4:5], s[12:13], v[20:21] op_sel_hi:[1,0,1] neg_lo:[1,0,1] neg_hi:[1,0,1]
	;; [unrolled: 1-line block ×4, first 2 shown]
	v_pk_add_f32 v[18:19], v[70:71], v[18:19]
	v_pk_add_f32 v[70:71], v[58:59], v[72:73]
	;; [unrolled: 1-line block ×3, first 2 shown]
	v_pk_fma_f32 v[20:21], v[66:67], s[2:3], v[20:21] op_sel_hi:[1,0,1]
	v_pk_add_f32 v[8:9], v[8:9], v[10:11]
	v_pk_fma_f32 v[4:5], v[66:67], s[2:3], v[4:5] op_sel_hi:[1,0,1]
	v_mov_b32_e32 v59, v58
	v_mov_b32_e32 v58, v19
	;; [unrolled: 1-line block ×10, first 2 shown]
	v_pk_add_f32 v[38:39], v[14:15], v[20:21]
	v_pk_add_f32 v[14:15], v[14:15], v[20:21] neg_lo:[0,1] neg_hi:[0,1]
	v_pk_add_f32 v[10:11], v[8:9], v[4:5] neg_lo:[0,1] neg_hi:[0,1]
	v_pk_add_f32 v[4:5], v[8:9], v[4:5]
	v_pk_add_f32 v[58:59], v[58:59], v[72:73] neg_lo:[0,1] neg_hi:[0,1]
	v_pk_add_f32 v[72:73], v[90:91], v[92:93]
	v_pk_add_f32 v[82:83], v[30:31], v[24:25]
	;; [unrolled: 1-line block ×4, first 2 shown]
	v_mov_b32_e32 v48, v38
	v_mov_b32_e32 v49, v15
	;; [unrolled: 1-line block ×8, first 2 shown]
	ds_write2_b64 v32, v[48:49], v[8:9] offset0:48 offset1:72
	v_mov_b32_e32 v5, v11
	v_mov_b32_e32 v15, v39
	;; [unrolled: 1-line block ×6, first 2 shown]
	v_pk_add_f32 v[74:75], v[90:91], v[92:93] neg_lo:[0,1] neg_hi:[0,1]
	v_pk_add_f32 v[44:45], v[44:45], v[46:47] neg_lo:[0,1] neg_hi:[0,1]
	ds_write2_b64 v32, v[4:5], v[14:15] offset0:96 offset1:120
	v_pk_add_f32 v[4:5], v[16:17], v[12:13]
	v_pk_add_f32 v[8:9], v[8:9], v[10:11]
	v_pk_add_f32 v[24:25], v[30:31], v[24:25] neg_lo:[0,1] neg_hi:[0,1]
	v_mov_b32_e32 v52, v44
	v_mov_b32_e32 v53, v75
	v_mov_b32_e32 v10, v8
	v_mov_b32_e32 v17, v5
	v_mov_b32_e32 v36, v74
	v_mov_b32_e32 v37, v25
	v_pk_add_f32 v[52:53], v[52:53], v[24:25] neg_lo:[0,1] neg_hi:[0,1]
	v_pk_add_f32 v[10:11], v[10:11], v[16:17] neg_lo:[0,1] neg_hi:[0,1]
	v_mov_b32_e32 v13, v5
	v_mov_b32_e32 v14, v8
	;; [unrolled: 1-line block ×3, first 2 shown]
	v_pk_add_f32 v[4:5], v[4:5], v[8:9]
	v_pk_add_f32 v[36:37], v[36:37], v[44:45] neg_lo:[0,1] neg_hi:[0,1]
	v_pk_mul_f32 v[52:53], v[52:53], s[14:15]
	v_pk_add_f32 v[50:51], v[24:25], v[44:45]
	v_pk_add_f32 v[14:15], v[12:13], v[14:15] neg_lo:[0,1] neg_hi:[0,1]
	v_pk_add_f32 v[2:3], v[4:5], v[2:3]
	v_pk_mul_f32 v[8:9], v[10:11], s[22:23]
	v_pk_add_f32 v[50:51], v[50:51], v[74:75]
	v_pk_mul_f32 v[10:11], v[14:15], s[18:19]
	v_pk_fma_f32 v[4:5], v[4:5], s[20:21], v[2:3] op_sel_hi:[1,0,1] neg_lo:[1,0,0] neg_hi:[1,0,0]
	v_pk_fma_f32 v[14:15], v[14:15], s[18:19], v[8:9]
	v_pk_fma_f32 v[26:27], v[36:37], s[4:5], v[52:53]
	v_mov_b32_e32 v97, v103
	v_pk_add_f32 v[14:15], v[14:15], v[4:5]
	v_pk_fma_f32 v[26:27], v[50:51], s[2:3], v[26:27] op_sel_hi:[1,0,1]
	ds_write_b64 v32, v[96:97] offset:1152
	v_pk_add_f32 v[32:33], v[14:15], v[26:27]
	v_pk_add_f32 v[14:15], v[14:15], v[26:27] neg_lo:[0,1] neg_hi:[0,1]
	v_pk_mul_f32 v[20:21], v[36:37], s[4:5]
	v_mov_b32_e32 v26, v32
	v_mov_b32_e32 v27, v15
	;; [unrolled: 1-line block ×5, first 2 shown]
	ds_write2_b64 v1, v[2:3], v[26:27] offset1:24
	v_pk_add_f32 v[2:3], v[24:25], v[74:75] neg_lo:[0,1] neg_hi:[0,1]
	v_pk_add_f32 v[12:13], v[16:17], v[12:13] neg_lo:[0,1] neg_hi:[0,1]
	v_mov_b32_e32 v16, v10
	v_mov_b32_e32 v17, v9
	;; [unrolled: 1-line block ×6, first 2 shown]
	v_pk_fma_f32 v[16:17], v[12:13], s[16:17], v[16:17] op_sel_hi:[1,0,1] neg_lo:[1,0,1] neg_hi:[1,0,1]
	v_pk_fma_f32 v[24:25], v[2:3], s[12:13], v[24:25] op_sel_hi:[1,0,1] neg_lo:[1,0,1] neg_hi:[1,0,1]
	;; [unrolled: 1-line block ×4, first 2 shown]
	v_pk_add_f32 v[16:17], v[16:17], v[4:5]
	v_pk_fma_f32 v[24:25], v[50:51], s[2:3], v[24:25] op_sel_hi:[1,0,1]
	v_pk_add_f32 v[4:5], v[8:9], v[4:5]
	v_pk_fma_f32 v[2:3], v[50:51], s[2:3], v[2:3] op_sel_hi:[1,0,1]
	v_mov_b32_e32 v43, v41
	v_mov_b32_e32 v87, v35
	v_pk_add_f32 v[26:27], v[16:17], v[24:25]
	v_pk_add_f32 v[16:17], v[16:17], v[24:25] neg_lo:[0,1] neg_hi:[0,1]
	v_pk_add_f32 v[8:9], v[4:5], v[2:3] neg_lo:[0,1] neg_hi:[0,1]
	v_pk_add_f32 v[2:3], v[4:5], v[2:3]
	v_pk_add_f32 v[84:85], v[84:85], v[88:89] neg_lo:[0,1] neg_hi:[0,1]
	v_pk_add_f32 v[88:89], v[42:43], v[86:87]
	v_mov_b32_e32 v24, v26
	v_mov_b32_e32 v25, v17
	;; [unrolled: 1-line block ×4, first 2 shown]
	ds_write2_b64 v1, v[24:25], v[4:5] offset0:48 offset1:72
	v_mov_b32_e32 v3, v9
	v_mov_b32_e32 v17, v27
	;; [unrolled: 1-line block ×6, first 2 shown]
	ds_write2_b64 v1, v[2:3], v[16:17] offset0:96 offset1:120
	v_pk_add_f32 v[2:3], v[70:71], v[18:19]
	v_pk_add_f32 v[4:5], v[4:5], v[8:9]
	v_pk_add_f32 v[42:43], v[42:43], v[86:87] neg_lo:[0,1] neg_hi:[0,1]
	v_mov_b32_e32 v46, v58
	v_mov_b32_e32 v47, v85
	;; [unrolled: 1-line block ×6, first 2 shown]
	v_pk_add_f32 v[46:47], v[46:47], v[42:43] neg_lo:[0,1] neg_hi:[0,1]
	v_pk_add_f32 v[8:9], v[8:9], v[70:71] neg_lo:[0,1] neg_hi:[0,1]
	v_mov_b32_e32 v19, v3
	v_mov_b32_e32 v10, v4
	;; [unrolled: 1-line block ×3, first 2 shown]
	v_pk_add_f32 v[2:3], v[2:3], v[4:5]
	v_pk_add_f32 v[28:29], v[28:29], v[58:59] neg_lo:[0,1] neg_hi:[0,1]
	v_pk_mul_f32 v[46:47], v[46:47], s[14:15]
	v_pk_add_f32 v[22:23], v[42:43], v[58:59]
	v_pk_add_f32 v[10:11], v[18:19], v[10:11] neg_lo:[0,1] neg_hi:[0,1]
	v_pk_add_f32 v[4:5], v[2:3], v[6:7]
	v_pk_mul_f32 v[6:7], v[8:9], s[22:23]
	v_pk_add_f32 v[22:23], v[22:23], v[84:85]
	v_pk_mul_f32 v[8:9], v[10:11], s[18:19]
	v_pk_fma_f32 v[2:3], v[2:3], s[20:21], v[4:5] op_sel_hi:[1,0,1] neg_lo:[1,0,0] neg_hi:[1,0,0]
	v_pk_fma_f32 v[10:11], v[10:11], s[18:19], v[6:7]
	v_pk_fma_f32 v[12:13], v[28:29], s[4:5], v[46:47]
	v_mov_b32_e32 v15, v33
	v_pk_add_f32 v[10:11], v[10:11], v[2:3]
	v_pk_fma_f32 v[12:13], v[22:23], s[2:3], v[12:13] op_sel_hi:[1,0,1]
	ds_write_b64 v1, v[14:15] offset:1152
	v_pk_add_f32 v[14:15], v[10:11], v[12:13]
	v_pk_add_f32 v[10:11], v[10:11], v[12:13] neg_lo:[0,1] neg_hi:[0,1]
	v_pk_mul_f32 v[30:31], v[28:29], s[4:5]
	v_mov_b32_e32 v12, v14
	v_mov_b32_e32 v13, v11
	;; [unrolled: 1-line block ×5, first 2 shown]
	ds_write2_b64 v34, v[4:5], v[12:13] offset1:24
	v_pk_add_f32 v[4:5], v[42:43], v[84:85] neg_lo:[0,1] neg_hi:[0,1]
	v_pk_add_f32 v[0:1], v[70:71], v[18:19] neg_lo:[0,1] neg_hi:[0,1]
	v_mov_b32_e32 v12, v8
	v_mov_b32_e32 v13, v7
	;; [unrolled: 1-line block ×6, first 2 shown]
	v_pk_fma_f32 v[12:13], v[0:1], s[16:17], v[12:13] op_sel_hi:[1,0,1] neg_lo:[1,0,1] neg_hi:[1,0,1]
	v_pk_fma_f32 v[16:17], v[4:5], s[12:13], v[16:17] op_sel_hi:[1,0,1] neg_lo:[1,0,1] neg_hi:[1,0,1]
	;; [unrolled: 1-line block ×4, first 2 shown]
	v_pk_add_f32 v[12:13], v[12:13], v[2:3]
	v_pk_fma_f32 v[16:17], v[22:23], s[2:3], v[16:17] op_sel_hi:[1,0,1]
	v_pk_add_f32 v[0:1], v[0:1], v[2:3]
	v_pk_fma_f32 v[2:3], v[22:23], s[2:3], v[4:5] op_sel_hi:[1,0,1]
	v_pk_add_f32 v[18:19], v[12:13], v[16:17]
	v_pk_add_f32 v[12:13], v[12:13], v[16:17] neg_lo:[0,1] neg_hi:[0,1]
	v_pk_add_f32 v[4:5], v[0:1], v[2:3] neg_lo:[0,1] neg_hi:[0,1]
	v_pk_add_f32 v[0:1], v[0:1], v[2:3]
	v_mov_b32_e32 v17, v13
	v_mov_b32_e32 v3, v1
	;; [unrolled: 1-line block ×4, first 2 shown]
	ds_write2_b64 v34, v[0:1], v[12:13] offset0:96 offset1:120
	v_mul_u32_u24_e32 v0, 6, v62
	v_mov_b32_e32 v16, v18
	v_mov_b32_e32 v2, v4
	;; [unrolled: 1-line block ×3, first 2 shown]
	v_lshlrev_b32_e32 v66, 3, v0
	ds_write2_b64 v34, v[16:17], v[2:3] offset0:48 offset1:72
	ds_write_b64 v34, v[10:11] offset:1152
	s_waitcnt lgkmcnt(0)
	; wave barrier
	s_waitcnt lgkmcnt(0)
	global_load_dwordx4 v[8:11], v66, s[8:9] offset:1344
	global_load_dwordx4 v[32:35], v66, s[8:9] offset:1360
	;; [unrolled: 1-line block ×6, first 2 shown]
	ds_read2_b64 v[0:3], v76 offset0:112 offset1:168
	ds_read2_b64 v[40:43], v78 offset0:80 offset1:136
	;; [unrolled: 1-line block ×4, first 2 shown]
	v_mov_b32_e32 v67, 0
	s_movk_i32 s3, 0x1000
	v_lshl_add_u64 v[74:75], s[8:9], 0, v[66:67]
	v_add_co_u32_e32 v4, vcc, s3, v74
	s_mov_b64 s[8:9], 0x1a30
	s_nop 0
	v_addc_co_u32_e32 v5, vcc, 0, v75, vcc
	global_load_dwordx4 v[12:15], v[4:5], off offset:2608
	v_lshl_add_u64 v[74:75], v[74:75], 0, s[8:9]
	s_waitcnt lgkmcnt(3)
	v_mov_b32_e32 v66, v3
	ds_read2_b64 v[48:51], v77 offset0:160 offset1:216
	ds_read2_b64 v[4:7], v77 offset0:48 offset1:104
	s_waitcnt vmcnt(6)
	v_mov_b32_e32 v93, v11
	s_waitcnt vmcnt(5) lgkmcnt(2)
	v_pk_mul_f32 v[36:37], v[22:23], v[32:33]
	v_mul_f32_e32 v71, v8, v19
	v_mov_b32_e32 v36, v37
	v_pk_fma_f32 v[72:73], v[22:23], v[32:33], v[36:37] neg_lo:[0,0,1] neg_hi:[0,0,1]
	s_waitcnt vmcnt(4)
	v_pk_mul_f32 v[36:37], v[42:43], v[30:31]
	s_waitcnt vmcnt(2)
	v_pk_mul_f32 v[86:87], v[52:53], v[2:3] op_sel_hi:[1,0]
	v_mov_b32_e32 v36, v37
	v_pk_fma_f32 v[68:69], v[42:43], v[30:31], v[36:37] neg_lo:[0,0,1] neg_hi:[0,0,1]
	ds_read2_b64 v[36:39], v63 offset0:128 offset1:184
	ds_read2_b64 v[56:59], v80 offset0:112 offset1:168
	global_load_dwordx4 v[82:85], v[74:75], off offset:16
	v_pk_fma_f32 v[90:91], v[52:53], v[66:67], v[86:87] op_sel:[0,0,1] op_sel_hi:[1,1,0]
	v_pk_fma_f32 v[2:3], v[52:53], v[2:3], v[86:87] op_sel:[0,1,1] op_sel_hi:[1,1,0] neg_lo:[1,0,0] neg_hi:[1,0,0]
	global_load_dwordx4 v[86:89], v[74:75], off offset:32
	v_mov_b32_e32 v52, v40
	s_waitcnt lgkmcnt(3)
	v_mov_b32_e32 v53, v49
	v_mul_f32_e32 v2, v55, v41
	v_mov_b32_e32 v92, v55
	v_mov_b32_e32 v74, v41
	;; [unrolled: 1-line block ×3, first 2 shown]
	v_fma_f32 v70, v54, v40, -v2
	v_mov_b32_e32 v40, v54
	v_mov_b32_e32 v41, v10
	v_pk_mul_f32 v[52:53], v[92:93], v[52:53]
	v_mov_b32_e32 v2, v35
	v_pk_fma_f32 v[54:55], v[54:55], v[74:75], v[52:53]
	v_pk_fma_f32 v[40:41], v[40:41], v[74:75], v[52:53] neg_lo:[0,0,1] neg_hi:[0,0,1]
	s_waitcnt lgkmcnt(0)
	v_pk_mul_f32 v[52:53], v[56:57], v[34:35] op_sel_hi:[1,0]
	v_mov_b32_e32 v34, v35
	v_pk_fma_f32 v[74:75], v[56:57], v[2:3], v[52:53] op_sel:[0,0,1] op_sel_hi:[1,1,0]
	v_pk_fma_f32 v[52:53], v[56:57], v[34:35], v[52:53] op_sel:[0,0,1] op_sel_hi:[1,0,0] neg_lo:[1,0,0] neg_hi:[1,0,0]
	s_waitcnt vmcnt(3)
	v_pk_mul_f32 v[34:35], v[58:59], v[46:47] op_sel_hi:[1,0]
	v_mov_b32_e32 v2, v47
	v_mov_b32_e32 v40, v47
	v_pk_fma_f32 v[46:47], v[58:59], v[2:3], v[34:35] op_sel:[0,0,1] op_sel_hi:[1,1,0]
	v_pk_fma_f32 v[56:57], v[58:59], v[40:41], v[34:35] op_sel:[0,0,1] op_sel_hi:[1,0,0] neg_lo:[1,0,0] neg_hi:[1,0,0]
	v_mov_b32_e32 v35, v8
	v_mov_b32_e32 v58, v23
	;; [unrolled: 1-line block ×5, first 2 shown]
	v_pk_mul_f32 v[22:23], v[8:9], v[22:23]
	v_mov_b32_e32 v34, v32
	v_pk_fma_f32 v[92:93], v[32:33], v[58:59], v[22:23]
	v_pk_mul_f32 v[32:33], v[36:37], v[44:45]
	v_mul_f32_e32 v69, v5, v24
	v_mov_b32_e32 v2, v33
	v_pk_fma_f32 v[94:95], v[36:37], v[44:45], v[2:3] neg_lo:[0,0,1] neg_hi:[0,0,1]
	v_pk_fma_f32 v[22:23], v[34:35], v[58:59], v[22:23] neg_lo:[0,0,1] neg_hi:[0,0,1]
	v_mov_b32_e32 v32, v37
	v_mov_b32_e32 v35, v24
	;; [unrolled: 1-line block ×6, first 2 shown]
	v_pk_mul_f32 v[36:37], v[36:37], v[24:25]
	v_mul_f32_e32 v19, v51, v26
	v_pk_fma_f32 v[44:45], v[32:33], v[44:45], v[36:37]
	v_pk_fma_f32 v[36:37], v[32:33], v[34:35], v[36:37] neg_lo:[0,0,1] neg_hi:[0,0,1]
	ds_read2_b64 v[32:35], v79 offset0:96 offset1:152
	v_mov_b32_e32 v58, v43
	v_mov_b32_e32 v43, v51
	;; [unrolled: 1-line block ×4, first 2 shown]
	v_pk_mul_f32 v[42:43], v[42:43], v[26:27]
	v_mov_b32_e32 v59, v50
	v_mov_b32_e32 v96, v30
	v_pk_fma_f32 v[96:97], v[58:59], v[96:97], v[42:43] neg_lo:[0,0,1] neg_hi:[0,0,1]
	v_pk_fma_f32 v[30:31], v[58:59], v[30:31], v[42:43]
	s_waitcnt lgkmcnt(0)
	v_pk_mul_f32 v[42:43], v[32:33], v[28:29] op_sel_hi:[1,0]
	v_mov_b32_e32 v2, v29
	v_pk_fma_f32 v[28:29], v[32:33], v[28:29], v[42:43] op_sel:[0,1,1] op_sel_hi:[1,1,0] neg_lo:[1,0,0] neg_hi:[1,0,0]
	v_pk_fma_f32 v[32:33], v[32:33], v[2:3], v[42:43] op_sel:[0,0,1] op_sel_hi:[1,1,0]
	s_waitcnt vmcnt(2)
	v_pk_mul_f32 v[42:43], v[34:35], v[12:13] op_sel_hi:[1,0]
	v_mov_b32_e32 v2, v13
	v_mul_f32_e32 v95, v4, v25
	v_pk_mul_f32 v[24:25], v[16:17], v[14:15]
	v_pk_fma_f32 v[58:59], v[34:35], v[2:3], v[42:43] op_sel:[0,0,1] op_sel_hi:[1,1,0]
	v_mul_f32_e32 v73, v9, v18
	v_mul_f32_e32 v5, v10, v49
	;; [unrolled: 1-line block ×3, first 2 shown]
	v_mov_b32_e32 v2, v25
	v_pk_fma_f32 v[24:25], v[16:17], v[14:15], v[2:3] neg_lo:[0,0,1] neg_hi:[0,0,1]
	v_mov_b32_e32 v4, v3
	v_mov_b32_e32 v8, v53
	;; [unrolled: 1-line block ×6, first 2 shown]
	v_pk_add_f32 v[8:9], v[4:5], v[8:9]
	s_waitcnt vmcnt(1)
	v_mul_f32_e32 v25, v7, v82
	v_pk_add_f32 v[52:53], v[70:71], v[72:73]
	v_pk_fma_f32 v[12:13], v[34:35], v[12:13], v[42:43] op_sel:[0,1,1] op_sel_hi:[1,1,0] neg_lo:[1,0,0] neg_hi:[1,0,0]
	s_waitcnt vmcnt(0)
	v_pk_mul_f32 v[48:49], v[38:39], v[86:87]
	v_mul_f32_e32 v11, v50, v27
	v_mov_b32_e32 v2, v49
	v_pk_fma_f32 v[48:49], v[38:39], v[86:87], v[2:3] neg_lo:[0,0,1] neg_hi:[0,0,1]
	v_mov_b32_e32 v2, v39
	v_mov_b32_e32 v39, v7
	;; [unrolled: 1-line block ×6, first 2 shown]
	v_mul_f32_e32 v21, v21, v84
	v_mov_b32_e32 v43, v84
	v_mov_b32_e32 v84, v15
	v_pk_mul_f32 v[38:39], v[38:39], v[82:83]
	v_mul_f32_e32 v49, v6, v83
	v_pk_add_f32 v[50:51], v[90:91], v[74:75]
	v_pk_add_f32 v[74:75], v[90:91], v[74:75] neg_lo:[0,1] neg_hi:[0,1]
	v_pk_add_f32 v[82:83], v[54:55], v[92:93]
	v_pk_add_f32 v[54:55], v[54:55], v[92:93] neg_lo:[0,1] neg_hi:[0,1]
	v_mov_b32_e32 v5, v70
	v_mov_b32_e32 v4, v9
	;; [unrolled: 1-line block ×5, first 2 shown]
	v_pk_mul_f32 v[16:17], v[16:17], v[84:85]
	v_pk_add_f32 v[70:71], v[4:5], v[70:71] neg_lo:[0,1] neg_hi:[0,1]
	v_mov_b32_e32 v42, v14
	v_mov_b32_e32 v4, v74
	;; [unrolled: 1-line block ×4, first 2 shown]
	ds_read_b64 v[40:41], v76 offset:8960
	v_pk_fma_f32 v[14:15], v[26:27], v[14:15], v[16:17]
	v_pk_fma_f32 v[16:17], v[26:27], v[42:43], v[16:17] neg_lo:[0,0,1] neg_hi:[0,0,1]
	v_pk_add_f32 v[26:27], v[4:5], v[70:71] neg_lo:[0,1] neg_hi:[0,1]
	v_mov_b32_e32 v4, v70
	v_mov_b32_e32 v5, v75
	v_pk_add_f32 v[4:5], v[4:5], v[54:55] neg_lo:[0,1] neg_hi:[0,1]
	v_mov_b32_e32 v3, v6
	v_pk_mul_f32 v[42:43], v[4:5], s[14:15]
	v_pk_add_f32 v[4:5], v[54:55], v[70:71]
	v_mov_b32_e32 v6, v86
	v_pk_add_f32 v[72:73], v[4:5], v[74:75]
	v_mov_b32_e32 v4, v23
	v_mov_b32_e32 v5, v82
	;; [unrolled: 1-line block ×3, first 2 shown]
	v_pk_fma_f32 v[6:7], v[2:3], v[6:7], v[38:39] neg_lo:[0,0,1] neg_hi:[0,0,1]
	v_mul_f32_e32 v35, v20, v85
	v_pk_add_f32 v[22:23], v[4:5], v[22:23]
	v_pk_fma_f32 v[84:85], v[2:3], v[86:87], v[38:39]
	s_waitcnt lgkmcnt(0)
	v_pk_mul_f32 v[2:3], v[40:41], v[88:89] op_sel_hi:[1,0]
	v_mov_b32_e32 v4, v89
	v_mov_b32_e32 v6, v89
	v_pk_add_f32 v[38:39], v[52:53], v[8:9]
	v_pk_fma_f32 v[86:87], v[40:41], v[4:5], v[2:3] op_sel:[0,0,1] op_sel_hi:[1,1,0]
	v_pk_fma_f32 v[40:41], v[40:41], v[6:7], v[2:3] op_sel:[0,0,1] op_sel_hi:[1,0,0] neg_lo:[1,0,0] neg_hi:[1,0,0]
	v_mov_b32_e32 v2, v22
	v_mov_b32_e32 v3, v50
	;; [unrolled: 1-line block ×3, first 2 shown]
	v_pk_add_f32 v[88:89], v[2:3], v[52:53] neg_lo:[0,1] neg_hi:[0,1]
	ds_read2_b64 v[2:5], v76 offset1:56
	v_mov_b32_e32 v9, v39
	v_mov_b32_e32 v90, v22
	;; [unrolled: 1-line block ×3, first 2 shown]
	v_pk_add_f32 v[22:23], v[38:39], v[22:23]
	v_pk_add_f32 v[90:91], v[8:9], v[90:91] neg_lo:[0,1] neg_hi:[0,1]
	v_pk_mul_f32 v[38:39], v[88:89], s[22:23]
	s_waitcnt lgkmcnt(0)
	v_pk_add_f32 v[2:3], v[2:3], v[22:23]
	v_pk_fma_f32 v[88:89], v[90:91], s[18:19], v[38:39]
	v_pk_fma_f32 v[22:23], v[22:23], s[20:21], v[2:3] op_sel_hi:[1,0,1] neg_lo:[1,0,0] neg_hi:[1,0,0]
	v_pk_fma_f32 v[92:93], v[26:27], s[4:5], v[42:43]
	v_mov_b32_e32 v18, v29
	v_mov_b32_e32 v10, v57
	v_pk_add_f32 v[88:89], v[88:89], v[22:23]
	v_pk_fma_f32 v[92:93], v[72:73], s[2:3], v[92:93] op_sel_hi:[1,0,1]
	v_mov_b32_e32 v33, v29
	v_mov_b32_e32 v47, v57
	;; [unrolled: 1-line block ×4, first 2 shown]
	v_pk_add_f32 v[10:11], v[18:19], v[10:11]
	v_pk_add_f32 v[18:19], v[68:69], v[94:95]
	v_pk_add_f32 v[98:99], v[88:89], v[92:93]
	v_pk_add_f32 v[88:89], v[88:89], v[92:93] neg_lo:[0,1] neg_hi:[0,1]
	v_pk_add_f32 v[92:93], v[32:33], v[46:47]
	v_pk_add_f32 v[32:33], v[32:33], v[46:47] neg_lo:[0,1] neg_hi:[0,1]
	v_pk_add_f32 v[46:47], v[30:31], v[44:45]
	v_pk_add_f32 v[30:31], v[30:31], v[44:45] neg_lo:[0,1] neg_hi:[0,1]
	v_mov_b32_e32 v29, v68
	v_mov_b32_e32 v28, v11
	;; [unrolled: 1-line block ×4, first 2 shown]
	v_pk_add_f32 v[28:29], v[28:29], v[44:45] neg_lo:[0,1] neg_hi:[0,1]
	v_mov_b32_e32 v36, v37
	v_mov_b32_e32 v37, v46
	;; [unrolled: 1-line block ×4, first 2 shown]
	v_pk_add_f32 v[36:37], v[36:37], v[44:45]
	v_pk_add_f32 v[44:45], v[18:19], v[10:11]
	v_mov_b32_e32 v68, v28
	v_mov_b32_e32 v19, v45
	;; [unrolled: 1-line block ×6, first 2 shown]
	v_pk_add_f32 v[44:45], v[44:45], v[36:37]
	v_mov_b32_e32 v56, v32
	v_mov_b32_e32 v57, v31
	v_pk_add_f32 v[68:69], v[68:69], v[30:31] neg_lo:[0,1] neg_hi:[0,1]
	v_pk_add_f32 v[96:97], v[96:97], v[18:19] neg_lo:[0,1] neg_hi:[0,1]
	v_mov_b32_e32 v37, v46
	v_pk_add_f32 v[4:5], v[4:5], v[44:45]
	v_pk_add_f32 v[56:57], v[56:57], v[28:29] neg_lo:[0,1] neg_hi:[0,1]
	v_pk_mul_f32 v[68:69], v[68:69], s[14:15]
	v_pk_add_f32 v[94:95], v[30:31], v[28:29]
	v_pk_add_f32 v[36:37], v[10:11], v[36:37] neg_lo:[0,1] neg_hi:[0,1]
	v_pk_mul_f32 v[96:97], v[96:97], s[22:23]
	v_pk_add_f32 v[94:95], v[94:95], v[32:33]
	v_pk_fma_f32 v[44:45], v[44:45], s[20:21], v[4:5] op_sel_hi:[1,0,1] neg_lo:[1,0,0] neg_hi:[1,0,0]
	v_pk_fma_f32 v[100:101], v[36:37], s[18:19], v[96:97]
	v_pk_fma_f32 v[102:103], v[56:57], s[4:5], v[68:69]
	v_pk_add_f32 v[100:101], v[100:101], v[44:45]
	v_pk_fma_f32 v[102:103], v[94:95], s[2:3], v[102:103] op_sel_hi:[1,0,1]
	v_mov_b32_e32 v59, v13
	v_mov_b32_e32 v87, v41
	;; [unrolled: 1-line block ×8, first 2 shown]
	v_pk_mul_f32 v[50:51], v[90:91], s[18:19]
	v_pk_add_f32 v[104:105], v[100:101], v[102:103]
	v_pk_add_f32 v[100:101], v[100:101], v[102:103] neg_lo:[0,1] neg_hi:[0,1]
	v_pk_add_f32 v[102:103], v[58:59], v[86:87]
	v_pk_add_f32 v[58:59], v[58:59], v[86:87] neg_lo:[0,1] neg_hi:[0,1]
	v_pk_add_f32 v[86:87], v[14:15], v[84:85]
	v_pk_add_f32 v[12:13], v[20:21], v[34:35]
	;; [unrolled: 1-line block ×3, first 2 shown]
	v_pk_add_f32 v[8:9], v[52:53], v[8:9] neg_lo:[0,1] neg_hi:[0,1]
	v_mov_b32_e32 v52, v50
	v_mov_b32_e32 v53, v39
	;; [unrolled: 1-line block ×12, first 2 shown]
	v_pk_mul_f32 v[26:27], v[26:27], s[4:5]
	v_pk_fma_f32 v[52:53], v[8:9], s[16:17], v[52:53] op_sel_hi:[1,0,1] neg_lo:[1,0,1] neg_hi:[1,0,1]
	v_pk_fma_f32 v[8:9], v[8:9], s[16:17], v[38:39] op_sel_hi:[1,0,1] neg_lo:[0,0,1] neg_hi:[0,0,1]
	v_pk_mul_f32 v[38:39], v[56:57], s[4:5]
	v_pk_mul_f32 v[36:37], v[36:37], s[18:19]
	v_mov_b32_e32 v31, v29
	v_mov_b32_e32 v19, v46
	;; [unrolled: 1-line block ×3, first 2 shown]
	v_pk_add_f32 v[24:25], v[24:25], v[34:35] neg_lo:[0,1] neg_hi:[0,1]
	v_pk_add_f32 v[6:7], v[6:7], v[16:17]
	v_pk_add_f32 v[16:17], v[20:21], v[12:13]
	v_pk_add_f32 v[54:55], v[54:55], v[74:75] neg_lo:[0,1] neg_hi:[0,1]
	v_mov_b32_e32 v70, v26
	v_mov_b32_e32 v71, v43
	;; [unrolled: 1-line block ×3, first 2 shown]
	s_waitcnt lgkmcnt(0)
	; wave barrier
	ds_write2_b64 v76, v[2:3], v[4:5] offset1:56
	v_pk_add_f32 v[4:5], v[30:31], v[32:33] neg_lo:[0,1] neg_hi:[0,1]
	v_pk_add_f32 v[10:11], v[18:19], v[10:11] neg_lo:[0,1] neg_hi:[0,1]
	v_mov_b32_e32 v18, v36
	v_mov_b32_e32 v19, v97
	;; [unrolled: 1-line block ×4, first 2 shown]
	v_pk_add_f32 v[14:15], v[14:15], v[84:85] neg_lo:[0,1] neg_hi:[0,1]
	v_mov_b32_e32 v21, v17
	v_mov_b32_e32 v40, v24
	;; [unrolled: 1-line block ×5, first 2 shown]
	v_pk_fma_f32 v[70:71], v[54:55], s[12:13], v[70:71] op_sel_hi:[1,0,1] neg_lo:[1,0,1] neg_hi:[1,0,1]
	v_pk_fma_f32 v[26:27], v[54:55], s[12:13], v[42:43] op_sel_hi:[1,0,1] neg_lo:[0,0,1] neg_hi:[0,0,1]
	;; [unrolled: 1-line block ×4, first 2 shown]
	v_mov_b32_e32 v13, v17
	v_pk_add_f32 v[16:17], v[16:17], v[6:7]
	v_mov_b32_e32 v34, v58
	v_mov_b32_e32 v35, v15
	v_pk_add_f32 v[40:41], v[40:41], v[14:15] neg_lo:[0,1] neg_hi:[0,1]
	v_pk_add_f32 v[84:85], v[84:85], v[20:21] neg_lo:[0,1] neg_hi:[0,1]
	v_mov_b32_e32 v7, v86
	v_pk_add_f32 v[52:53], v[52:53], v[22:23]
	v_pk_fma_f32 v[70:71], v[72:73], s[2:3], v[70:71] op_sel_hi:[1,0,1]
	v_pk_add_f32 v[8:9], v[8:9], v[22:23]
	v_pk_fma_f32 v[26:27], v[72:73], s[2:3], v[26:27] op_sel_hi:[1,0,1]
	;; [unrolled: 2-line block ×3, first 2 shown]
	v_mov_b32_e32 v97, v37
	v_mov_b32_e32 v69, v39
	v_pk_add_f32 v[0:1], v[0:1], v[16:17]
	v_pk_add_f32 v[34:35], v[34:35], v[24:25] neg_lo:[0,1] neg_hi:[0,1]
	v_pk_mul_f32 v[40:41], v[40:41], s[14:15]
	v_pk_add_f32 v[48:49], v[14:15], v[24:25]
	v_pk_add_f32 v[6:7], v[12:13], v[6:7] neg_lo:[0,1] neg_hi:[0,1]
	v_pk_mul_f32 v[84:85], v[84:85], s[22:23]
	v_pk_add_f32 v[74:75], v[52:53], v[70:71]
	v_pk_add_f32 v[52:53], v[52:53], v[70:71] neg_lo:[0,1] neg_hi:[0,1]
	v_pk_add_f32 v[42:43], v[8:9], v[26:27] neg_lo:[0,1] neg_hi:[0,1]
	v_pk_add_f32 v[8:9], v[8:9], v[26:27]
	v_pk_add_f32 v[30:31], v[18:19], v[28:29]
	v_pk_add_f32 v[18:19], v[18:19], v[28:29] neg_lo:[0,1] neg_hi:[0,1]
	v_pk_fma_f32 v[10:11], v[10:11], s[16:17], v[96:97] op_sel_hi:[1,0,1] neg_lo:[0,0,1] neg_hi:[0,0,1]
	v_pk_fma_f32 v[4:5], v[4:5], s[12:13], v[68:69] op_sel_hi:[1,0,1] neg_lo:[0,0,1] neg_hi:[0,0,1]
	v_pk_add_f32 v[48:49], v[48:49], v[58:59]
	v_pk_fma_f32 v[16:17], v[16:17], s[20:21], v[0:1] op_sel_hi:[1,0,1] neg_lo:[1,0,0] neg_hi:[1,0,0]
	v_pk_fma_f32 v[106:107], v[6:7], s[18:19], v[84:85]
	v_pk_fma_f32 v[108:109], v[34:35], s[4:5], v[40:41]
	v_mov_b32_e32 v26, v42
	v_mov_b32_e32 v27, v9
	;; [unrolled: 1-line block ×7, first 2 shown]
	v_pk_add_f32 v[10:11], v[10:11], v[44:45]
	v_pk_fma_f32 v[4:5], v[94:95], s[2:3], v[4:5] op_sel_hi:[1,0,1]
	v_pk_add_f32 v[106:107], v[106:107], v[16:17]
	v_pk_fma_f32 v[108:109], v[48:49], s[2:3], v[108:109] op_sel_hi:[1,0,1]
	ds_write2_b64 v78, v[42:43], v[28:29] offset0:80 offset1:136
	v_pk_add_f32 v[28:29], v[10:11], v[4:5] neg_lo:[0,1] neg_hi:[0,1]
	v_pk_add_f32 v[4:5], v[10:11], v[4:5]
	v_pk_add_f32 v[110:111], v[106:107], v[108:109]
	v_pk_add_f32 v[106:107], v[106:107], v[108:109] neg_lo:[0,1] neg_hi:[0,1]
	v_mov_b32_e32 v23, v89
	v_mov_b32_e32 v89, v99
	;; [unrolled: 1-line block ×6, first 2 shown]
	v_pk_mul_f32 v[34:35], v[34:35], s[4:5]
	v_pk_mul_f32 v[6:7], v[6:7], s[18:19]
	v_mov_b32_e32 v22, v98
	v_mov_b32_e32 v2, v104
	ds_write2_b64 v77, v[8:9], v[4:5] offset0:160 offset1:216
	ds_write2_b64 v80, v[88:89], v[100:101] offset0:112 offset1:168
	;; [unrolled: 1-line block ×3, first 2 shown]
	v_mov_b32_e32 v0, v110
	v_mov_b32_e32 v1, v107
	;; [unrolled: 1-line block ×5, first 2 shown]
	ds_write2_b64 v79, v[2:3], v[0:1] offset0:96 offset1:152
	v_pk_add_f32 v[0:1], v[14:15], v[58:59] neg_lo:[0,1] neg_hi:[0,1]
	v_pk_add_f32 v[2:3], v[20:21], v[12:13] neg_lo:[0,1] neg_hi:[0,1]
	v_mov_b32_e32 v4, v6
	v_mov_b32_e32 v5, v85
	v_mov_b32_e32 v8, v34
	v_mov_b32_e32 v9, v41
	v_mov_b32_e32 v85, v7
	v_mov_b32_e32 v41, v35
	v_pk_fma_f32 v[4:5], v[2:3], s[16:17], v[4:5] op_sel_hi:[1,0,1] neg_lo:[1,0,1] neg_hi:[1,0,1]
	v_pk_fma_f32 v[8:9], v[0:1], s[12:13], v[8:9] op_sel_hi:[1,0,1] neg_lo:[1,0,1] neg_hi:[1,0,1]
	v_pk_fma_f32 v[2:3], v[2:3], s[16:17], v[84:85] op_sel_hi:[1,0,1] neg_lo:[0,0,1] neg_hi:[0,0,1]
	v_pk_fma_f32 v[0:1], v[0:1], s[12:13], v[40:41] op_sel_hi:[1,0,1] neg_lo:[0,0,1] neg_hi:[0,0,1]
	v_pk_add_f32 v[4:5], v[4:5], v[16:17]
	v_pk_fma_f32 v[8:9], v[48:49], s[2:3], v[8:9] op_sel_hi:[1,0,1]
	v_pk_add_f32 v[2:3], v[2:3], v[16:17]
	v_pk_fma_f32 v[0:1], v[48:49], s[2:3], v[0:1] op_sel_hi:[1,0,1]
	v_pk_add_f32 v[12:13], v[4:5], v[8:9]
	v_pk_add_f32 v[4:5], v[4:5], v[8:9] neg_lo:[0,1] neg_hi:[0,1]
	v_pk_add_f32 v[6:7], v[2:3], v[0:1] neg_lo:[0,1] neg_hi:[0,1]
	v_pk_add_f32 v[0:1], v[2:3], v[0:1]
	v_mov_b32_e32 v53, v75
	v_mov_b32_e32 v10, v28
	v_mov_b32_e32 v19, v31
	v_mov_b32_e32 v8, v12
	v_mov_b32_e32 v9, v5
	v_mov_b32_e32 v2, v6
	v_mov_b32_e32 v3, v1
	v_mov_b32_e32 v1, v7
	v_mov_b32_e32 v5, v13
	v_mov_b32_e32 v107, v111
	ds_write2_b64 v78, v[8:9], v[26:27] offset0:192 offset1:248
	ds_write2_b64 v77, v[10:11], v[2:3] offset0:48 offset1:104
	;; [unrolled: 1-line block ×4, first 2 shown]
	ds_write_b64 v76, v[106:107] offset:8960
	s_waitcnt lgkmcnt(0)
	; wave barrier
	s_waitcnt lgkmcnt(0)
	s_and_saveexec_b64 s[2:3], s[0:1]
	s_cbranch_execz .LBB0_33
; %bb.32:
	v_mul_lo_u32 v0, s11, v64
	v_mul_lo_u32 v1, s10, v65
	v_mad_u64_u32 v[4:5], s[0:1], s10, v64, 0
	v_lshl_add_u32 v10, v62, 3, 0
	v_add3_u32 v5, v5, v1, v0
	ds_read2_b64 v[0:3], v10 offset1:56
	v_lshl_add_u64 v[4:5], v[4:5], 3, s[6:7]
	v_mov_b32_e32 v63, v67
	v_lshl_add_u64 v[8:9], v[60:61], 3, v[4:5]
	v_lshl_add_u64 v[4:5], v[62:63], 3, v[8:9]
	s_waitcnt lgkmcnt(0)
	global_store_dwordx2 v[4:5], v[0:1], off
	ds_read2_b64 v[4:7], v10 offset0:112 offset1:168
	v_add_u32_e32 v66, 56, v62
	v_lshl_add_u64 v[0:1], v[66:67], 3, v[8:9]
	v_add_u32_e32 v66, 0x70, v62
	global_store_dwordx2 v[0:1], v[2:3], off
	v_lshl_add_u64 v[0:1], v[66:67], 3, v[8:9]
	s_waitcnt lgkmcnt(0)
	global_store_dwordx2 v[0:1], v[4:5], off
	v_add_u32_e32 v0, 0x400, v10
	ds_read2_b64 v[0:3], v0 offset0:96 offset1:152
	v_add_u32_e32 v66, 0xa8, v62
	v_lshl_add_u64 v[4:5], v[66:67], 3, v[8:9]
	v_add_u32_e32 v66, 0xe0, v62
	global_store_dwordx2 v[4:5], v[6:7], off
	v_lshl_add_u64 v[4:5], v[66:67], 3, v[8:9]
	v_add_u32_e32 v11, 0x800, v10
	s_waitcnt lgkmcnt(0)
	global_store_dwordx2 v[4:5], v[0:1], off
	ds_read2_b64 v[4:7], v11 offset0:80 offset1:136
	v_add_u32_e32 v66, 0x118, v62
	v_lshl_add_u64 v[0:1], v[66:67], 3, v[8:9]
	v_add_u32_e32 v66, 0x150, v62
	global_store_dwordx2 v[0:1], v[2:3], off
	v_lshl_add_u64 v[0:1], v[66:67], 3, v[8:9]
	s_waitcnt lgkmcnt(0)
	global_store_dwordx2 v[0:1], v[4:5], off
	ds_read2_b64 v[0:3], v11 offset0:192 offset1:248
	v_add_u32_e32 v66, 0x188, v62
	v_lshl_add_u64 v[4:5], v[66:67], 3, v[8:9]
	v_add_u32_e32 v66, 0x1c0, v62
	global_store_dwordx2 v[4:5], v[6:7], off
	v_lshl_add_u64 v[4:5], v[66:67], 3, v[8:9]
	v_add_u32_e32 v11, 0x1000, v10
	s_waitcnt lgkmcnt(0)
	global_store_dwordx2 v[4:5], v[0:1], off
	ds_read2_b64 v[4:7], v11 offset0:48 offset1:104
	v_add_u32_e32 v66, 0x1f8, v62
	v_lshl_add_u64 v[0:1], v[66:67], 3, v[8:9]
	v_add_u32_e32 v66, 0x230, v62
	global_store_dwordx2 v[0:1], v[2:3], off
	v_lshl_add_u64 v[0:1], v[66:67], 3, v[8:9]
	s_waitcnt lgkmcnt(0)
	global_store_dwordx2 v[0:1], v[4:5], off
	;; [unrolled: 17-line block ×3, first 2 shown]
	ds_read2_b64 v[0:3], v11 offset0:128 offset1:184
	v_add_u32_e32 v66, 0x348, v62
	v_lshl_add_u64 v[4:5], v[66:67], 3, v[8:9]
	v_add_u32_e32 v66, 0x380, v62
	global_store_dwordx2 v[4:5], v[6:7], off
	v_lshl_add_u64 v[4:5], v[66:67], 3, v[8:9]
	s_waitcnt lgkmcnt(0)
	global_store_dwordx2 v[4:5], v[0:1], off
	v_add_u32_e32 v0, 0x1c00, v10
	ds_read2_b64 v[4:7], v0 offset0:112 offset1:168
	v_add_u32_e32 v66, 0x3b8, v62
	v_lshl_add_u64 v[0:1], v[66:67], 3, v[8:9]
	v_add_u32_e32 v66, 0x3f0, v62
	global_store_dwordx2 v[0:1], v[2:3], off
	v_lshl_add_u64 v[0:1], v[66:67], 3, v[8:9]
	s_waitcnt lgkmcnt(0)
	global_store_dwordx2 v[0:1], v[4:5], off
	ds_read_b64 v[0:1], v10 offset:8960
	v_add_u32_e32 v66, 0x428, v62
	v_lshl_add_u64 v[2:3], v[66:67], 3, v[8:9]
	v_add_u32_e32 v66, 0x460, v62
	global_store_dwordx2 v[2:3], v[6:7], off
	v_lshl_add_u64 v[2:3], v[66:67], 3, v[8:9]
	s_waitcnt lgkmcnt(0)
	global_store_dwordx2 v[2:3], v[0:1], off
.LBB0_33:
	s_endpgm
	.section	.rodata,"a",@progbits
	.p2align	6, 0x0
	.amdhsa_kernel fft_rtc_fwd_len1176_factors_2_2_2_3_7_7_wgs_56_tpt_56_halfLds_sp_op_CI_CI_unitstride_sbrr_C2R_dirReg
		.amdhsa_group_segment_fixed_size 0
		.amdhsa_private_segment_fixed_size 0
		.amdhsa_kernarg_size 104
		.amdhsa_user_sgpr_count 2
		.amdhsa_user_sgpr_dispatch_ptr 0
		.amdhsa_user_sgpr_queue_ptr 0
		.amdhsa_user_sgpr_kernarg_segment_ptr 1
		.amdhsa_user_sgpr_dispatch_id 0
		.amdhsa_user_sgpr_kernarg_preload_length 0
		.amdhsa_user_sgpr_kernarg_preload_offset 0
		.amdhsa_user_sgpr_private_segment_size 0
		.amdhsa_uses_dynamic_stack 0
		.amdhsa_enable_private_segment 0
		.amdhsa_system_sgpr_workgroup_id_x 1
		.amdhsa_system_sgpr_workgroup_id_y 0
		.amdhsa_system_sgpr_workgroup_id_z 0
		.amdhsa_system_sgpr_workgroup_info 0
		.amdhsa_system_vgpr_workitem_id 0
		.amdhsa_next_free_vgpr 112
		.amdhsa_next_free_sgpr 28
		.amdhsa_accum_offset 112
		.amdhsa_reserve_vcc 1
		.amdhsa_float_round_mode_32 0
		.amdhsa_float_round_mode_16_64 0
		.amdhsa_float_denorm_mode_32 3
		.amdhsa_float_denorm_mode_16_64 3
		.amdhsa_dx10_clamp 1
		.amdhsa_ieee_mode 1
		.amdhsa_fp16_overflow 0
		.amdhsa_tg_split 0
		.amdhsa_exception_fp_ieee_invalid_op 0
		.amdhsa_exception_fp_denorm_src 0
		.amdhsa_exception_fp_ieee_div_zero 0
		.amdhsa_exception_fp_ieee_overflow 0
		.amdhsa_exception_fp_ieee_underflow 0
		.amdhsa_exception_fp_ieee_inexact 0
		.amdhsa_exception_int_div_zero 0
	.end_amdhsa_kernel
	.text
.Lfunc_end0:
	.size	fft_rtc_fwd_len1176_factors_2_2_2_3_7_7_wgs_56_tpt_56_halfLds_sp_op_CI_CI_unitstride_sbrr_C2R_dirReg, .Lfunc_end0-fft_rtc_fwd_len1176_factors_2_2_2_3_7_7_wgs_56_tpt_56_halfLds_sp_op_CI_CI_unitstride_sbrr_C2R_dirReg
                                        ; -- End function
	.section	.AMDGPU.csdata,"",@progbits
; Kernel info:
; codeLenInByte = 13428
; NumSgprs: 34
; NumVgprs: 112
; NumAgprs: 0
; TotalNumVgprs: 112
; ScratchSize: 0
; MemoryBound: 0
; FloatMode: 240
; IeeeMode: 1
; LDSByteSize: 0 bytes/workgroup (compile time only)
; SGPRBlocks: 4
; VGPRBlocks: 13
; NumSGPRsForWavesPerEU: 34
; NumVGPRsForWavesPerEU: 112
; AccumOffset: 112
; Occupancy: 4
; WaveLimiterHint : 1
; COMPUTE_PGM_RSRC2:SCRATCH_EN: 0
; COMPUTE_PGM_RSRC2:USER_SGPR: 2
; COMPUTE_PGM_RSRC2:TRAP_HANDLER: 0
; COMPUTE_PGM_RSRC2:TGID_X_EN: 1
; COMPUTE_PGM_RSRC2:TGID_Y_EN: 0
; COMPUTE_PGM_RSRC2:TGID_Z_EN: 0
; COMPUTE_PGM_RSRC2:TIDIG_COMP_CNT: 0
; COMPUTE_PGM_RSRC3_GFX90A:ACCUM_OFFSET: 27
; COMPUTE_PGM_RSRC3_GFX90A:TG_SPLIT: 0
	.text
	.p2alignl 6, 3212836864
	.fill 256, 4, 3212836864
	.type	__hip_cuid_eab23d0b367a84ef,@object ; @__hip_cuid_eab23d0b367a84ef
	.section	.bss,"aw",@nobits
	.globl	__hip_cuid_eab23d0b367a84ef
__hip_cuid_eab23d0b367a84ef:
	.byte	0                               ; 0x0
	.size	__hip_cuid_eab23d0b367a84ef, 1

	.ident	"AMD clang version 19.0.0git (https://github.com/RadeonOpenCompute/llvm-project roc-6.4.0 25133 c7fe45cf4b819c5991fe208aaa96edf142730f1d)"
	.section	".note.GNU-stack","",@progbits
	.addrsig
	.addrsig_sym __hip_cuid_eab23d0b367a84ef
	.amdgpu_metadata
---
amdhsa.kernels:
  - .agpr_count:     0
    .args:
      - .actual_access:  read_only
        .address_space:  global
        .offset:         0
        .size:           8
        .value_kind:     global_buffer
      - .offset:         8
        .size:           8
        .value_kind:     by_value
      - .actual_access:  read_only
        .address_space:  global
        .offset:         16
        .size:           8
        .value_kind:     global_buffer
      - .actual_access:  read_only
        .address_space:  global
        .offset:         24
        .size:           8
        .value_kind:     global_buffer
      - .actual_access:  read_only
        .address_space:  global
        .offset:         32
        .size:           8
        .value_kind:     global_buffer
      - .offset:         40
        .size:           8
        .value_kind:     by_value
      - .actual_access:  read_only
        .address_space:  global
        .offset:         48
        .size:           8
        .value_kind:     global_buffer
      - .actual_access:  read_only
        .address_space:  global
        .offset:         56
        .size:           8
        .value_kind:     global_buffer
      - .offset:         64
        .size:           4
        .value_kind:     by_value
      - .actual_access:  read_only
        .address_space:  global
        .offset:         72
        .size:           8
        .value_kind:     global_buffer
      - .actual_access:  read_only
        .address_space:  global
        .offset:         80
        .size:           8
        .value_kind:     global_buffer
      - .actual_access:  read_only
        .address_space:  global
        .offset:         88
        .size:           8
        .value_kind:     global_buffer
      - .actual_access:  write_only
        .address_space:  global
        .offset:         96
        .size:           8
        .value_kind:     global_buffer
    .group_segment_fixed_size: 0
    .kernarg_segment_align: 8
    .kernarg_segment_size: 104
    .language:       OpenCL C
    .language_version:
      - 2
      - 0
    .max_flat_workgroup_size: 56
    .name:           fft_rtc_fwd_len1176_factors_2_2_2_3_7_7_wgs_56_tpt_56_halfLds_sp_op_CI_CI_unitstride_sbrr_C2R_dirReg
    .private_segment_fixed_size: 0
    .sgpr_count:     34
    .sgpr_spill_count: 0
    .symbol:         fft_rtc_fwd_len1176_factors_2_2_2_3_7_7_wgs_56_tpt_56_halfLds_sp_op_CI_CI_unitstride_sbrr_C2R_dirReg.kd
    .uniform_work_group_size: 1
    .uses_dynamic_stack: false
    .vgpr_count:     112
    .vgpr_spill_count: 0
    .wavefront_size: 64
amdhsa.target:   amdgcn-amd-amdhsa--gfx950
amdhsa.version:
  - 1
  - 2
...

	.end_amdgpu_metadata
